;; amdgpu-corpus repo=ROCm/rocFFT kind=compiled arch=gfx950 opt=O3
	.text
	.amdgcn_target "amdgcn-amd-amdhsa--gfx950"
	.amdhsa_code_object_version 6
	.protected	bluestein_single_fwd_len2040_dim1_dp_op_CI_CI ; -- Begin function bluestein_single_fwd_len2040_dim1_dp_op_CI_CI
	.globl	bluestein_single_fwd_len2040_dim1_dp_op_CI_CI
	.p2align	8
	.type	bluestein_single_fwd_len2040_dim1_dp_op_CI_CI,@function
bluestein_single_fwd_len2040_dim1_dp_op_CI_CI: ; @bluestein_single_fwd_len2040_dim1_dp_op_CI_CI
; %bb.0:
	s_load_dwordx4 s[8:11], s[0:1], 0x28
	v_mul_u32_u24_e32 v1, 0x182, v0
	v_mov_b32_e32 v245, 0
	v_add_u32_sdwa v254, s2, v1 dst_sel:DWORD dst_unused:UNUSED_PAD src0_sel:DWORD src1_sel:WORD_1
	v_mov_b32_e32 v255, v245
	s_waitcnt lgkmcnt(0)
	v_cmp_gt_u64_e32 vcc, s[8:9], v[254:255]
	s_and_saveexec_b64 s[2:3], vcc
	s_cbranch_execz .LBB0_23
; %bb.1:
	s_load_dwordx2 s[8:9], s[0:1], 0x0
	s_load_dwordx2 s[12:13], s[0:1], 0x38
	s_movk_i32 s2, 0xaa
	v_mul_lo_u16_sdwa v1, v1, s2 dst_sel:DWORD dst_unused:UNUSED_PAD src0_sel:WORD_1 src1_sel:DWORD
	v_sub_u16_e32 v244, v0, v1
	s_movk_i32 s2, 0x78
	v_cmp_gt_u16_e32 vcc, s2, v244
	v_lshlrev_b32_e32 v240, 4, v244
	s_and_saveexec_b64 s[14:15], vcc
	s_cbranch_execz .LBB0_3
; %bb.2:
	s_load_dwordx2 s[2:3], s[0:1], 0x18
	v_mov_b32_e32 v241, 0
	s_waitcnt lgkmcnt(0)
	v_lshl_add_u64 v[134:135], s[8:9], 0, v[240:241]
	v_mov_b32_e32 v0, s10
	v_mov_b32_e32 v1, s11
	s_load_dwordx4 s[4:7], s[2:3], 0x0
	s_movk_i32 s10, 0x4000
	v_mov_b32_e32 v20, 0x780
	v_or_b32_e32 v141, 0x780, v244
	v_lshlrev_b32_e32 v21, 4, v141
	s_waitcnt lgkmcnt(0)
	v_mad_u64_u32 v[2:3], s[2:3], s6, v254, 0
	v_mad_u64_u32 v[4:5], s[2:3], s4, v244, 0
	v_mov_b32_e32 v6, v3
	v_mov_b32_e32 v8, v5
	v_mad_u64_u32 v[6:7], s[2:3], s7, v254, v[6:7]
	v_mov_b32_e32 v3, v6
	v_mad_u64_u32 v[6:7], s[2:3], s5, v244, v[8:9]
	s_movk_i32 s2, 0x1000
	s_nop 0
	v_add_co_u32_e64 v50, s[2:3], s2, v134
	s_movk_i32 s6, 0x2000
	s_nop 0
	v_addc_co_u32_e64 v51, s[2:3], 0, v135, s[2:3]
	v_add_co_u32_e64 v52, s[2:3], s6, v134
	s_movk_i32 s7, 0x3000
	s_nop 0
	v_addc_co_u32_e64 v53, s[2:3], 0, v135, s[2:3]
	v_add_co_u32_e64 v54, s[2:3], s7, v134
	v_mov_b32_e32 v5, v6
	v_lshl_add_u64 v[16:17], v[2:3], 4, v[0:1]
	v_addc_co_u32_e64 v55, s[2:3], 0, v135, s[2:3]
	v_lshl_add_u64 v[18:19], v[4:5], 4, v[16:17]
	v_add_co_u32_e64 v98, s[2:3], s10, v134
	global_load_dwordx4 v[0:3], v240, s[8:9]
	global_load_dwordx4 v[4:7], v[18:19], off
	v_addc_co_u32_e64 v99, s[2:3], 0, v135, s[2:3]
	s_mul_i32 s6, s5, 0x780
	v_mad_u64_u32 v[18:19], s[2:3], s4, v20, v[18:19]
	v_add_u32_e32 v19, s6, v19
	v_mad_u64_u32 v[58:59], s[2:3], s4, v20, v[18:19]
	v_add_u32_e32 v59, s6, v59
	global_load_dwordx4 v[8:11], v240, s[8:9] offset:1920
	global_load_dwordx4 v[12:15], v240, s[8:9] offset:3840
	global_load_dwordx4 v[22:25], v21, s[8:9]
	global_load_dwordx4 v[26:29], v[50:51], off offset:1664
	global_load_dwordx4 v[30:33], v[50:51], off offset:3584
	;; [unrolled: 1-line block ×6, first 2 shown]
	s_nop 0
	global_load_dwordx4 v[50:53], v[18:19], off
	global_load_dwordx4 v[54:57], v[58:59], off
	v_mad_u64_u32 v[18:19], s[2:3], s4, v20, v[58:59]
	v_add_u32_e32 v19, s6, v19
	v_mad_u64_u32 v[66:67], s[2:3], s4, v20, v[18:19]
	v_add_u32_e32 v67, s6, v67
	global_load_dwordx4 v[58:61], v[18:19], off
	global_load_dwordx4 v[62:65], v[66:67], off
	v_mad_u64_u32 v[18:19], s[2:3], s4, v20, v[66:67]
	v_add_u32_e32 v19, s6, v19
	global_load_dwordx4 v[66:69], v[18:19], off
	v_mad_u64_u32 v[18:19], s[2:3], s4, v20, v[18:19]
	v_add_u32_e32 v19, s6, v19
	;; [unrolled: 3-line block ×5, first 2 shown]
	v_mad_u64_u32 v[100:101], s[2:3], s4, v20, v[18:19]
	v_add_u32_e32 v101, s6, v101
	v_mad_u64_u32 v[102:103], s[2:3], s4, v20, v[100:101]
	s_movk_i32 s2, 0x5000
	v_add_u32_e32 v103, s6, v103
	v_add_co_u32_e64 v114, s[2:3], s2, v134
	global_load_dwordx4 v[82:85], v[18:19], off
	s_nop 0
	v_addc_co_u32_e64 v115, s[2:3], 0, v135, s[2:3]
	v_mad_u64_u32 v[116:117], s[2:3], s4, v20, v[102:103]
	v_add_u32_e32 v117, s6, v117
	global_load_dwordx4 v[86:89], v[100:101], off
	global_load_dwordx4 v[90:93], v[98:99], off offset:896
	global_load_dwordx4 v[94:97], v[98:99], off offset:2816
	v_mad_u64_u32 v[118:119], s[2:3], s4, v20, v[116:117]
	s_movk_i32 s2, 0x6000
	v_add_u32_e32 v119, s6, v119
	v_add_co_u32_e64 v126, s[2:3], s2, v134
	global_load_dwordx4 v[98:101], v[102:103], off
	s_nop 0
	v_addc_co_u32_e64 v127, s[2:3], 0, v135, s[2:3]
	v_mad_u64_u32 v[130:131], s[2:3], s4, v20, v[118:119]
	global_load_dwordx4 v[102:105], v[116:117], off
	global_load_dwordx4 v[106:109], v[114:115], off offset:640
	global_load_dwordx4 v[110:113], v[114:115], off offset:2560
	v_add_u32_e32 v131, s6, v131
	v_mad_u64_u32 v[20:21], s[2:3], s4, v20, v[130:131]
	v_add_u32_e32 v21, s6, v21
	s_movk_i32 s2, 0x7000
	global_load_dwordx4 v[114:117], v[118:119], off
	s_nop 0
	global_load_dwordx4 v[118:121], v[130:131], off
	global_load_dwordx4 v[122:125], v[126:127], off offset:384
	s_nop 0
	global_load_dwordx4 v[126:129], v[126:127], off offset:2304
	s_waitcnt vmcnt(29)
	v_mul_f64 v[18:19], v[6:7], v[2:3]
	global_load_dwordx4 v[130:133], v[20:21], off
	v_add_co_u32_e64 v20, s[2:3], s2, v134
	v_mul_f64 v[2:3], v[4:5], v[2:3]
	s_nop 0
	v_addc_co_u32_e64 v21, s[2:3], 0, v135, s[2:3]
	v_mad_u64_u32 v[138:139], s[2:3], s4, v141, 0
	v_mov_b32_e32 v140, v139
	global_load_dwordx4 v[134:137], v[20:21], off offset:128
	v_mad_u64_u32 v[20:21], s[2:3], s5, v141, v[140:141]
	v_mov_b32_e32 v139, v20
	v_lshl_add_u64 v[16:17], v[138:139], 4, v[16:17]
	global_load_dwordx4 v[138:141], v[16:17], off
	v_fmac_f64_e32 v[18:19], v[4:5], v[0:1]
	v_fma_f64 v[20:21], v[6:7], v[0:1], -v[2:3]
	s_waitcnt vmcnt(22)
	v_mul_f64 v[0:1], v[52:53], v[10:11]
	v_mul_f64 v[2:3], v[50:51], v[10:11]
	v_fmac_f64_e32 v[0:1], v[50:51], v[8:9]
	v_fma_f64 v[2:3], v[52:53], v[8:9], -v[2:3]
	ds_write_b128 v240, v[0:3] offset:1920
	s_waitcnt vmcnt(21)
	v_mul_f64 v[0:1], v[56:57], v[14:15]
	v_mul_f64 v[2:3], v[54:55], v[14:15]
	v_fmac_f64_e32 v[0:1], v[54:55], v[12:13]
	v_fma_f64 v[2:3], v[56:57], v[12:13], -v[2:3]
	ds_write_b128 v240, v[0:3] offset:3840
	;; [unrolled: 6-line block ×14, first 2 shown]
	ds_write_b128 v240, v[18:21]
	s_waitcnt vmcnt(1)
	v_mul_f64 v[0:1], v[132:133], v[136:137]
	v_mul_f64 v[2:3], v[130:131], v[136:137]
	v_fmac_f64_e32 v[0:1], v[130:131], v[134:135]
	v_fma_f64 v[2:3], v[132:133], v[134:135], -v[2:3]
	ds_write_b128 v240, v[0:3] offset:28800
	s_waitcnt vmcnt(0)
	v_mul_f64 v[0:1], v[140:141], v[24:25]
	v_mul_f64 v[2:3], v[138:139], v[24:25]
	v_fmac_f64_e32 v[0:1], v[138:139], v[22:23]
	v_fma_f64 v[2:3], v[140:141], v[22:23], -v[2:3]
	ds_write_b128 v240, v[0:3] offset:30720
.LBB0_3:
	s_or_b64 exec, exec, s[14:15]
	s_load_dwordx2 s[4:5], s[0:1], 0x20
	s_load_dwordx2 s[2:3], s[0:1], 0x8
	s_waitcnt lgkmcnt(0)
	s_barrier
	s_waitcnt lgkmcnt(0)
                                        ; implicit-def: $vgpr0_vgpr1
                                        ; implicit-def: $vgpr4_vgpr5
                                        ; implicit-def: $vgpr12_vgpr13
                                        ; implicit-def: $vgpr20_vgpr21
                                        ; implicit-def: $vgpr32_vgpr33
                                        ; implicit-def: $vgpr40_vgpr41
                                        ; implicit-def: $vgpr48_vgpr49
                                        ; implicit-def: $vgpr52_vgpr53
                                        ; implicit-def: $vgpr56_vgpr57
                                        ; implicit-def: $vgpr60_vgpr61
                                        ; implicit-def: $vgpr68_vgpr69
                                        ; implicit-def: $vgpr44_vgpr45
                                        ; implicit-def: $vgpr36_vgpr37
                                        ; implicit-def: $vgpr28_vgpr29
                                        ; implicit-def: $vgpr24_vgpr25
                                        ; implicit-def: $vgpr16_vgpr17
                                        ; implicit-def: $vgpr8_vgpr9
	s_and_saveexec_b64 s[0:1], vcc
	s_cbranch_execz .LBB0_5
; %bb.4:
	ds_read_b128 v[0:3], v240
	ds_read_b128 v[8:11], v240 offset:1920
	ds_read_b128 v[16:19], v240 offset:3840
	ds_read_b128 v[4:7], v240 offset:5760
	ds_read_b128 v[12:15], v240 offset:7680
	ds_read_b128 v[24:27], v240 offset:9600
	ds_read_b128 v[28:31], v240 offset:11520
	ds_read_b128 v[20:23], v240 offset:13440
	ds_read_b128 v[32:35], v240 offset:15360
	ds_read_b128 v[36:39], v240 offset:17280
	ds_read_b128 v[44:47], v240 offset:19200
	ds_read_b128 v[40:43], v240 offset:21120
	ds_read_b128 v[48:51], v240 offset:23040
	ds_read_b128 v[52:55], v240 offset:24960
	ds_read_b128 v[56:59], v240 offset:26880
	ds_read_b128 v[60:63], v240 offset:28800
	ds_read_b128 v[68:71], v240 offset:30720
.LBB0_5:
	s_or_b64 exec, exec, s[0:1]
	s_mov_b32 s20, 0x5d8e7cdc
	s_waitcnt lgkmcnt(0)
	v_add_f64 v[96:97], v[10:11], -v[70:71]
	s_mov_b32 s0, 0x370991
	s_mov_b32 s21, 0xbfd71e95
	;; [unrolled: 1-line block ×3, first 2 shown]
	v_add_f64 v[124:125], v[68:69], v[8:9]
	v_add_f64 v[100:101], v[8:9], -v[68:69]
	s_mov_b32 s1, 0x3fedd6d0
	v_mul_f64 v[90:91], v[96:97], s[20:21]
	s_mov_b32 s14, 0x75d4884
	s_mov_b32 s25, 0xbfe58eea
	v_add_f64 v[98:99], v[18:19], -v[62:63]
	v_add_f64 v[126:127], v[70:71], v[10:11]
	v_mul_f64 v[92:93], v[100:101], s[20:21]
	v_fma_f64 v[64:65], s[0:1], v[124:125], v[90:91]
	s_mov_b32 s15, 0x3fe7a5f6
	s_mov_b32 s28, 0x7c9e640b
	v_add_f64 v[138:139], v[60:61], v[16:17]
	v_add_f64 v[102:103], v[16:17], -v[60:61]
	v_mul_f64 v[94:95], v[98:99], s[24:25]
	v_add_f64 v[64:65], v[0:1], v[64:65]
	v_fma_f64 v[66:67], v[126:127], s[0:1], -v[92:93]
	s_mov_b32 s6, 0x2b2883cd
	s_mov_b32 s29, 0xbfeca52d
	v_add_f64 v[144:145], v[62:63], v[18:19]
	v_mul_f64 v[112:113], v[102:103], s[24:25]
	v_fma_f64 v[72:73], s[14:15], v[138:139], v[94:95]
	v_add_f64 v[106:107], v[6:7], -v[58:59]
	v_add_f64 v[66:67], v[2:3], v[66:67]
	s_mov_b32 s7, 0x3fdc86fa
	s_mov_b32 s34, 0xeb564b22
	v_add_f64 v[64:65], v[72:73], v[64:65]
	v_fma_f64 v[72:73], v[144:145], s[14:15], -v[112:113]
	v_add_f64 v[150:151], v[4:5], v[56:57]
	v_add_f64 v[104:105], v[4:5], -v[56:57]
	v_mul_f64 v[218:219], v[106:107], s[28:29]
	s_mov_b32 s16, 0x3259b75e
	s_mov_b32 s35, 0xbfefdd0d
	v_add_f64 v[66:67], v[72:73], v[66:67]
	v_add_f64 v[152:153], v[6:7], v[58:59]
	v_mul_f64 v[220:221], v[104:105], s[28:29]
	v_fma_f64 v[72:73], s[6:7], v[150:151], v[218:219]
	v_add_f64 v[110:111], v[14:15], -v[54:55]
	s_mov_b32 s17, 0x3fb79ee6
	s_mov_b32 s36, 0x923c349f
	v_add_f64 v[64:65], v[72:73], v[64:65]
	v_fma_f64 v[72:73], v[152:153], s[6:7], -v[220:221]
	v_add_f64 v[158:159], v[12:13], v[52:53]
	v_add_f64 v[108:109], v[12:13], -v[52:53]
	v_mul_f64 v[224:225], v[110:111], s[34:35]
	s_mov_b32 s10, 0xc61f0d01
	s_mov_b32 s37, 0xbfeec746
	v_add_f64 v[66:67], v[72:73], v[66:67]
	v_add_f64 v[160:161], v[14:15], v[54:55]
	v_mul_f64 v[226:227], v[108:109], s[34:35]
	v_fma_f64 v[72:73], s[16:17], v[158:159], v[224:225]
	v_add_f64 v[228:229], v[26:27], -v[50:51]
	s_mov_b32 s11, 0xbfd183b1
	v_add_f64 v[64:65], v[72:73], v[64:65]
	v_fma_f64 v[72:73], v[160:161], s[16:17], -v[226:227]
	v_add_f64 v[162:163], v[48:49], v[24:25]
	v_mul_f64 v[230:231], v[228:229], s[36:37]
	v_add_f64 v[222:223], v[24:25], -v[48:49]
	s_mov_b32 s38, 0x6c9a05f6
	v_add_f64 v[66:67], v[72:73], v[66:67]
	v_fma_f64 v[72:73], s[10:11], v[162:163], v[230:231]
	v_add_f64 v[166:167], v[50:51], v[26:27]
	v_mul_f64 v[232:233], v[222:223], s[36:37]
	s_mov_b32 s18, 0x6ed5f1bb
	s_mov_b32 s39, 0xbfe9895b
	v_add_f64 v[248:249], v[30:31], -v[42:43]
	v_add_f64 v[64:65], v[72:73], v[64:65]
	v_fma_f64 v[72:73], v[166:167], s[10:11], -v[232:233]
	s_mov_b32 s19, 0xbfe348c8
	v_add_f64 v[170:171], v[40:41], v[28:29]
	v_mul_f64 v[234:235], v[248:249], s[38:39]
	v_add_f64 v[242:243], v[28:29], -v[40:41]
	s_mov_b32 s44, 0x4363dd80
	v_add_f64 v[66:67], v[72:73], v[66:67]
	v_fma_f64 v[72:73], s[18:19], v[170:171], v[234:235]
	v_add_f64 v[172:173], v[42:43], v[30:31]
	v_mul_f64 v[236:237], v[242:243], s[38:39]
	s_mov_b32 s22, 0x910ea3b9
	s_mov_b32 s45, 0x3fe0d888
	;; [unrolled: 1-line block ×4, first 2 shown]
	v_add_f64 v[116:117], v[22:23], -v[46:47]
	v_add_f64 v[64:65], v[72:73], v[64:65]
	v_fma_f64 v[72:73], v[172:173], s[18:19], -v[236:237]
	s_mov_b32 s23, 0xbfeb34fa
	v_add_f64 v[176:177], v[20:21], v[44:45]
	v_mul_f64 v[238:239], v[116:117], s[40:41]
	v_add_f64 v[114:115], v[20:21], -v[44:45]
	s_mov_b32 s42, 0xacd6c6b4
	v_add_f64 v[66:67], v[72:73], v[66:67]
	v_fma_f64 v[72:73], s[22:23], v[176:177], v[238:239]
	v_add_f64 v[180:181], v[22:23], v[46:47]
	v_mul_f64 v[246:247], v[114:115], s[40:41]
	s_mov_b32 s26, 0x7faef3
	s_mov_b32 s43, 0xbfc7851a
	v_add_f64 v[148:149], v[34:35], -v[38:39]
	v_add_f64 v[64:65], v[72:73], v[64:65]
	v_fma_f64 v[72:73], v[180:181], s[22:23], -v[246:247]
	s_mov_b32 s27, 0xbfef7484
	v_add_f64 v[190:191], v[32:33], v[36:37]
	v_mul_f64 v[250:251], v[148:149], s[42:43]
	v_add_f64 v[146:147], v[32:33], -v[36:37]
	v_add_f64 v[66:67], v[72:73], v[66:67]
	v_fma_f64 v[72:73], s[26:27], v[190:191], v[250:251]
	v_add_f64 v[198:199], v[34:35], v[38:39]
	v_mul_f64 v[252:253], v[146:147], s[42:43]
	v_add_f64 v[128:129], v[72:73], v[64:65]
	v_fma_f64 v[64:65], v[198:199], s[26:27], -v[252:253]
	v_add_f64 v[130:131], v[64:65], v[66:67]
	v_mul_f64 v[64:65], v[96:97], s[24:25]
	v_accvgpr_write_b32 a4, v64
	v_mul_f64 v[66:67], v[98:99], s[34:35]
	v_accvgpr_write_b32 a5, v65
	v_fma_f64 v[64:65], s[14:15], v[124:125], v[64:65]
	v_accvgpr_write_b32 a6, v66
	v_add_f64 v[64:65], v[0:1], v[64:65]
	v_accvgpr_write_b32 a7, v67
	v_fma_f64 v[66:67], s[16:17], v[138:139], v[66:67]
	v_add_f64 v[64:65], v[66:67], v[64:65]
	v_mul_f64 v[66:67], v[100:101], s[24:25]
	v_accvgpr_write_b32 a12, v66
	v_mul_f64 v[72:73], v[102:103], s[34:35]
	v_accvgpr_write_b32 a13, v67
	v_fma_f64 v[66:67], v[126:127], s[14:15], -v[66:67]
	v_accvgpr_write_b32 a14, v72
	v_add_f64 v[66:67], v[2:3], v[66:67]
	v_accvgpr_write_b32 a15, v73
	v_fma_f64 v[72:73], v[144:145], s[16:17], -v[72:73]
	v_add_f64 v[66:67], v[72:73], v[66:67]
	v_mul_f64 v[72:73], v[106:107], s[38:39]
	v_accvgpr_write_b32 a8, v72
	v_accvgpr_write_b32 a9, v73
	v_fma_f64 v[72:73], s[18:19], v[150:151], v[72:73]
	v_add_f64 v[64:65], v[72:73], v[64:65]
	v_mul_f64 v[72:73], v[104:105], s[38:39]
	v_accvgpr_write_b32 a18, v72
	v_accvgpr_write_b32 a19, v73
	v_fma_f64 v[72:73], v[152:153], s[18:19], -v[72:73]
	v_add_f64 v[66:67], v[72:73], v[66:67]
	v_mul_f64 v[72:73], v[110:111], s[42:43]
	v_accvgpr_write_b32 a10, v72
	v_accvgpr_write_b32 a11, v73
	v_fma_f64 v[72:73], s[26:27], v[158:159], v[72:73]
	v_add_f64 v[64:65], v[72:73], v[64:65]
	v_mul_f64 v[72:73], v[108:109], s[42:43]
	v_accvgpr_write_b32 a22, v72
	;; [unrolled: 10-line block ×3, first 2 shown]
	v_accvgpr_write_b32 a27, v73
	v_fma_f64 v[72:73], v[166:167], s[22:23], -v[72:73]
	s_mov_b32 s47, 0x3feec746
	s_mov_b32 s46, s36
	v_add_f64 v[66:67], v[72:73], v[66:67]
	v_mul_f64 v[72:73], v[248:249], s[46:47]
	v_accvgpr_write_b32 a20, v72
	v_accvgpr_write_b32 a21, v73
	v_fma_f64 v[72:73], s[10:11], v[170:171], v[72:73]
	v_add_f64 v[64:65], v[72:73], v[64:65]
	v_mul_f64 v[72:73], v[242:243], s[46:47]
	v_accvgpr_write_b32 a30, v72
	v_accvgpr_write_b32 a31, v73
	v_fma_f64 v[72:73], v[172:173], s[10:11], -v[72:73]
	s_mov_b32 s49, 0x3feca52d
	s_mov_b32 s48, s28
	v_add_f64 v[66:67], v[72:73], v[66:67]
	v_mul_f64 v[72:73], v[116:117], s[48:49]
	v_accvgpr_write_b32 a24, v72
	v_accvgpr_write_b32 a25, v73
	v_fma_f64 v[72:73], s[6:7], v[176:177], v[72:73]
	v_add_f64 v[64:65], v[72:73], v[64:65]
	v_mul_f64 v[72:73], v[114:115], s[48:49]
	v_accvgpr_write_b32 a32, v72
	;; [unrolled: 12-line block ×3, first 2 shown]
	v_accvgpr_write_b32 a35, v65
	v_fma_f64 v[64:65], v[198:199], s[0:1], -v[64:65]
	v_add_f64 v[142:143], v[64:65], v[66:67]
	v_mul_f64 v[64:65], v[96:97], s[28:29]
	v_accvgpr_write_b32 a36, v64
	v_mul_f64 v[66:67], v[98:99], s[38:39]
	v_accvgpr_write_b32 a37, v65
	v_fma_f64 v[64:65], s[6:7], v[124:125], v[64:65]
	v_accvgpr_write_b32 a38, v66
	v_add_f64 v[64:65], v[0:1], v[64:65]
	v_accvgpr_write_b32 a39, v67
	v_fma_f64 v[66:67], s[18:19], v[138:139], v[66:67]
	v_add_f64 v[64:65], v[66:67], v[64:65]
	v_mul_f64 v[66:67], v[100:101], s[28:29]
	v_accvgpr_write_b32 a50, v66
	v_mul_f64 v[72:73], v[102:103], s[38:39]
	v_accvgpr_write_b32 a51, v67
	v_fma_f64 v[66:67], v[126:127], s[6:7], -v[66:67]
	v_accvgpr_write_b32 a52, v72
	v_add_f64 v[66:67], v[2:3], v[66:67]
	v_accvgpr_write_b32 a53, v73
	v_fma_f64 v[72:73], v[144:145], s[18:19], -v[72:73]
	s_mov_b32 s53, 0x3fc7851a
	s_mov_b32 s52, s42
	v_add_f64 v[66:67], v[72:73], v[66:67]
	v_mul_f64 v[72:73], v[106:107], s[52:53]
	v_accvgpr_write_b32 a40, v72
	v_accvgpr_write_b32 a41, v73
	v_fma_f64 v[72:73], s[26:27], v[150:151], v[72:73]
	v_add_f64 v[64:65], v[72:73], v[64:65]
	v_mul_f64 v[72:73], v[104:105], s[52:53]
	v_accvgpr_write_b32 a56, v72
	v_accvgpr_write_b32 a57, v73
	v_fma_f64 v[72:73], v[152:153], s[26:27], -v[72:73]
	v_add_f64 v[66:67], v[72:73], v[66:67]
	v_mul_f64 v[72:73], v[110:111], s[46:47]
	v_accvgpr_write_b32 a42, v72
	v_accvgpr_write_b32 a43, v73
	v_fma_f64 v[72:73], s[10:11], v[158:159], v[72:73]
	v_mul_f64 v[118:119], v[108:109], s[46:47]
	v_add_f64 v[64:65], v[72:73], v[64:65]
	v_fma_f64 v[72:73], v[160:161], s[10:11], -v[118:119]
	s_mov_b32 s55, 0x3fe58eea
	s_mov_b32 s54, s24
	v_add_f64 v[66:67], v[72:73], v[66:67]
	v_mul_f64 v[72:73], v[228:229], s[54:55]
	v_accvgpr_write_b32 a44, v72
	v_accvgpr_write_b32 a45, v73
	v_fma_f64 v[72:73], s[14:15], v[162:163], v[72:73]
	v_mul_f64 v[120:121], v[222:223], s[54:55]
	v_add_f64 v[64:65], v[72:73], v[64:65]
	v_fma_f64 v[72:73], v[166:167], s[14:15], -v[120:121]
	v_add_f64 v[66:67], v[72:73], v[66:67]
	v_mul_f64 v[72:73], v[248:249], s[20:21]
	v_accvgpr_write_b32 a46, v72
	v_accvgpr_write_b32 a47, v73
	v_fma_f64 v[72:73], s[0:1], v[170:171], v[72:73]
	v_add_f64 v[64:65], v[72:73], v[64:65]
	v_mul_f64 v[72:73], v[242:243], s[20:21]
	v_accvgpr_write_b32 a62, v72
	v_accvgpr_write_b32 a63, v73
	v_fma_f64 v[72:73], v[172:173], s[0:1], -v[72:73]
	v_add_f64 v[66:67], v[72:73], v[66:67]
	v_mul_f64 v[72:73], v[116:117], s[34:35]
	v_accvgpr_write_b32 a48, v72
	v_accvgpr_write_b32 a49, v73
	v_fma_f64 v[72:73], s[16:17], v[176:177], v[72:73]
	v_add_f64 v[64:65], v[72:73], v[64:65]
	v_mul_f64 v[72:73], v[114:115], s[34:35]
	v_accvgpr_write_b32 a64, v72
	v_accvgpr_write_b32 a65, v73
	;; [unrolled: 10-line block ×3, first 2 shown]
	v_fma_f64 v[72:73], v[198:199], s[22:23], -v[72:73]
	v_add_f64 v[66:67], v[72:73], v[66:67]
	v_mul_f64 v[72:73], v[96:97], s[34:35]
	v_accvgpr_write_b32 a77, v73
	v_mul_f64 v[74:75], v[98:99], s[42:43]
	v_accvgpr_write_b32 a76, v72
	v_fma_f64 v[72:73], s[16:17], v[124:125], v[72:73]
	v_accvgpr_write_b32 a83, v75
	v_add_f64 v[72:73], v[0:1], v[72:73]
	v_accvgpr_write_b32 a82, v74
	v_fma_f64 v[74:75], s[26:27], v[138:139], v[74:75]
	v_mul_f64 v[134:135], v[100:101], s[34:35]
	v_add_f64 v[72:73], v[74:75], v[72:73]
	v_fma_f64 v[74:75], v[126:127], s[16:17], -v[134:135]
	v_mul_f64 v[154:155], v[102:103], s[42:43]
	v_add_f64 v[74:75], v[2:3], v[74:75]
	v_fma_f64 v[76:77], v[144:145], s[26:27], -v[154:155]
	v_mul_f64 v[122:123], v[106:107], s[46:47]
	v_add_f64 v[74:75], v[76:77], v[74:75]
	v_fma_f64 v[76:77], s[10:11], v[150:151], v[122:123]
	v_mul_f64 v[164:165], v[104:105], s[46:47]
	v_add_f64 v[72:73], v[76:77], v[72:73]
	v_fma_f64 v[76:77], v[152:153], s[10:11], -v[164:165]
	v_mul_f64 v[132:133], v[110:111], s[50:51]
	v_add_f64 v[74:75], v[76:77], v[74:75]
	v_fma_f64 v[76:77], s[0:1], v[158:159], v[132:133]
	;; [unrolled: 6-line block ×4, first 2 shown]
	v_mul_f64 v[184:185], v[242:243], s[40:41]
	s_mov_b32 s59, 0x3fe9895b
	s_mov_b32 s58, s38
	v_add_f64 v[72:73], v[76:77], v[72:73]
	v_fma_f64 v[76:77], v[172:173], s[22:23], -v[184:185]
	v_mul_f64 v[168:169], v[116:117], s[58:59]
	v_add_f64 v[74:75], v[76:77], v[74:75]
	v_fma_f64 v[76:77], s[18:19], v[176:177], v[168:169]
	v_mul_f64 v[186:187], v[114:115], s[58:59]
	v_add_f64 v[72:73], v[76:77], v[72:73]
	v_fma_f64 v[76:77], v[180:181], s[18:19], -v[186:187]
	v_mul_f64 v[178:179], v[148:149], s[54:55]
	v_add_f64 v[74:75], v[76:77], v[74:75]
	v_fma_f64 v[76:77], s[14:15], v[190:191], v[178:179]
	v_mul_f64 v[188:189], v[146:147], s[54:55]
	;; [unrolled: 6-line block ×3, first 2 shown]
	v_add_f64 v[72:73], v[0:1], v[72:73]
	v_fma_f64 v[74:75], s[22:23], v[138:139], v[194:195]
	v_mul_f64 v[202:203], v[100:101], s[36:37]
	v_add_f64 v[74:75], v[74:75], v[72:73]
	v_fma_f64 v[72:73], v[126:127], s[10:11], -v[202:203]
	v_add_f64 v[76:77], v[2:3], v[72:73]
	v_mul_f64 v[72:73], v[102:103], s[44:45]
	v_fma_f64 v[78:79], v[144:145], s[22:23], -v[72:73]
	v_mul_f64 v[196:197], v[106:107], s[54:55]
	v_add_f64 v[76:77], v[78:79], v[76:77]
	v_fma_f64 v[78:79], s[14:15], v[150:151], v[196:197]
	v_mul_f64 v[206:207], v[104:105], s[54:55]
	v_add_f64 v[74:75], v[78:79], v[74:75]
	v_fma_f64 v[78:79], v[152:153], s[14:15], -v[206:207]
	v_mul_f64 v[200:201], v[110:111], s[28:29]
	v_add_f64 v[76:77], v[78:79], v[76:77]
	v_fma_f64 v[78:79], s[6:7], v[158:159], v[200:201]
	v_mul_f64 v[210:211], v[108:109], s[28:29]
	v_add_f64 v[74:75], v[78:79], v[74:75]
	v_fma_f64 v[78:79], v[160:161], s[6:7], -v[210:211]
	v_mul_f64 v[204:205], v[228:229], s[42:43]
	v_add_f64 v[76:77], v[78:79], v[76:77]
	v_fma_f64 v[78:79], s[26:27], v[162:163], v[204:205]
	v_mul_f64 v[214:215], v[222:223], s[42:43]
	v_add_f64 v[78:79], v[78:79], v[74:75]
	v_fma_f64 v[74:75], v[166:167], s[26:27], -v[214:215]
	s_mov_b32 s57, 0x3fefdd0d
	s_mov_b32 s56, s34
	v_add_f64 v[84:85], v[74:75], v[76:77]
	v_mul_f64 v[74:75], v[248:249], s[56:57]
	v_fma_f64 v[76:77], s[16:17], v[170:171], v[74:75]
	v_add_f64 v[78:79], v[76:77], v[78:79]
	v_mul_f64 v[76:77], v[242:243], s[56:57]
	v_fma_f64 v[86:87], v[172:173], s[16:17], -v[76:77]
	v_mul_f64 v[208:209], v[116:117], s[20:21]
	v_add_f64 v[84:85], v[86:87], v[84:85]
	v_fma_f64 v[86:87], s[0:1], v[176:177], v[208:209]
	v_add_f64 v[86:87], v[86:87], v[78:79]
	v_mul_f64 v[78:79], v[114:115], s[20:21]
	v_fma_f64 v[88:89], v[180:181], s[0:1], -v[78:79]
	v_mul_f64 v[212:213], v[148:149], s[38:39]
	v_add_f64 v[88:89], v[88:89], v[84:85]
	v_fma_f64 v[84:85], s[18:19], v[190:191], v[212:213]
	v_mul_f64 v[216:217], v[146:147], s[38:39]
	v_add_f64 v[84:85], v[84:85], v[86:87]
	v_fma_f64 v[86:87], v[198:199], s[18:19], -v[216:217]
	v_add_f64 v[86:87], v[86:87], v[88:89]
	s_barrier
	s_and_saveexec_b64 s[30:31], vcc
	s_cbranch_execz .LBB0_7
; %bb.6:
	v_mul_f64 v[88:89], v[126:127], s[26:27]
	v_accvgpr_write_b32 a66, v90
	v_accvgpr_write_b32 a78, v92
	;; [unrolled: 1-line block ×3, first 2 shown]
	v_fma_f64 v[90:91], s[52:53], v[100:101], v[88:89]
	v_accvgpr_write_b32 a79, v93
	v_mul_f64 v[92:93], v[144:145], s[0:1]
	v_accvgpr_write_b32 a70, v94
	v_add_f64 v[90:91], v[2:3], v[90:91]
	v_accvgpr_write_b32 a71, v95
	v_fma_f64 v[94:95], s[20:21], v[102:103], v[92:93]
	v_add_f64 v[90:91], v[94:95], v[90:91]
	v_mul_f64 v[94:95], v[152:153], s[22:23]
	v_accvgpr_write_b32 a72, v218
	v_accvgpr_write_b32 a73, v219
	v_fma_f64 v[218:219], s[44:45], v[104:105], v[94:95]
	v_add_f64 v[90:91], v[218:219], v[90:91]
	v_mul_f64 v[218:219], v[160:161], s[14:15]
	v_accvgpr_write_b32 a88, v220
	;; [unrolled: 5-line block ×6, first 2 shown]
	v_accvgpr_write_b32 a92, v234
	v_accvgpr_write_b32 a97, v233
	v_fma_f64 v[232:233], s[26:27], v[124:125], v[230:231]
	v_accvgpr_write_b32 a93, v235
	v_mul_f64 v[234:235], v[98:99], s[50:51]
	v_accvgpr_write_b32 a100, v236
	v_add_f64 v[232:233], v[0:1], v[232:233]
	v_accvgpr_write_b32 a101, v237
	v_fma_f64 v[236:237], s[0:1], v[138:139], v[234:235]
	v_add_f64 v[232:233], v[236:237], v[232:233]
	v_mul_f64 v[236:237], v[106:107], s[40:41]
	v_accvgpr_write_b32 a94, v238
	v_accvgpr_write_b32 a95, v239
	v_fma_f64 v[238:239], s[22:23], v[150:151], v[236:237]
	v_add_f64 v[232:233], v[238:239], v[232:233]
	v_mul_f64 v[238:239], v[110:111], s[54:55]
	v_accvgpr_write_b32 a0, v244
	v_accvgpr_write_b32 a1, v245
	v_fma_f64 v[244:245], s[14:15], v[158:159], v[238:239]
	v_fmac_f64_e32 v[88:89], s[42:43], v[100:101]
	v_add_f64 v[232:233], v[244:245], v[232:233]
	v_mul_f64 v[244:245], v[228:229], s[38:39]
	v_accvgpr_write_b32 a102, v246
	v_fmac_f64_e32 v[92:93], s[50:51], v[102:103]
	v_add_f64 v[88:89], v[2:3], v[88:89]
	v_accvgpr_write_b32 a103, v247
	v_fma_f64 v[246:247], s[18:19], v[162:163], v[244:245]
	v_add_f64 v[88:89], v[92:93], v[88:89]
	v_fmac_f64_e32 v[94:95], s[40:41], v[104:105]
	v_add_f64 v[232:233], v[246:247], v[232:233]
	v_mul_f64 v[246:247], v[248:249], s[48:49]
	v_accvgpr_write_b32 a98, v250
	v_add_f64 v[88:89], v[94:95], v[88:89]
	v_fma_f64 v[94:95], v[124:125], s[26:27], -v[230:231]
	v_accvgpr_write_b32 a99, v251
	v_fma_f64 v[250:251], s[6:7], v[170:171], v[246:247]
	v_fma_f64 v[92:93], v[138:139], s[0:1], -v[234:235]
	v_add_f64 v[94:95], v[0:1], v[94:95]
	v_add_f64 v[232:233], v[250:251], v[232:233]
	v_mul_f64 v[250:251], v[116:117], s[36:37]
	v_accvgpr_write_b32 a104, v252
	v_fmac_f64_e32 v[218:219], s[54:55], v[108:109]
	v_add_f64 v[92:93], v[92:93], v[94:95]
	v_fma_f64 v[94:95], v[150:151], s[22:23], -v[236:237]
	v_accvgpr_write_b32 a105, v253
	v_fma_f64 v[252:253], s[10:11], v[176:177], v[250:251]
	v_add_f64 v[88:89], v[218:219], v[88:89]
	v_fmac_f64_e32 v[220:221], s[38:39], v[222:223]
	v_add_f64 v[92:93], v[94:95], v[92:93]
	v_fma_f64 v[94:95], v[158:159], s[14:15], -v[238:239]
	v_add_f64 v[232:233], v[252:253], v[232:233]
	v_mul_f64 v[252:253], v[198:199], s[16:17]
	v_add_f64 v[88:89], v[220:221], v[88:89]
	v_fmac_f64_e32 v[224:225], s[48:49], v[242:243]
	v_add_f64 v[92:93], v[94:95], v[92:93]
	v_fma_f64 v[94:95], v[162:163], s[18:19], -v[244:245]
	v_accvgpr_write_b32 a2, v254
	v_fma_f64 v[254:255], s[34:35], v[146:147], v[252:253]
	v_accvgpr_write_b32 a108, v120
	v_add_f64 v[88:89], v[224:225], v[88:89]
	v_fmac_f64_e32 v[226:227], s[36:37], v[114:115]
	v_add_f64 v[92:93], v[94:95], v[92:93]
	v_fma_f64 v[94:95], v[170:171], s[6:7], -v[246:247]
	v_accvgpr_write_b32 a109, v121
	v_add_f64 v[120:121], v[254:255], v[90:91]
	v_mul_f64 v[90:91], v[148:149], s[56:57]
	v_add_f64 v[88:89], v[226:227], v[88:89]
	v_add_f64 v[92:93], v[94:95], v[92:93]
	v_fma_f64 v[94:95], v[176:177], s[10:11], -v[250:251]
	v_fmac_f64_e32 v[252:253], s[56:57], v[146:147]
	v_add_f64 v[92:93], v[94:95], v[92:93]
	v_add_f64 v[94:95], v[252:253], v[88:89]
	v_fma_f64 v[88:89], v[190:191], s[16:17], -v[90:91]
	v_add_f64 v[92:93], v[88:89], v[92:93]
	v_accvgpr_write_b32 a84, v92
	v_accvgpr_write_b32 a85, v93
	;; [unrolled: 1-line block ×4, first 2 shown]
	v_mul_f64 v[92:93], v[126:127], s[22:23]
	v_fma_f64 v[88:89], s[44:45], v[100:101], v[92:93]
	v_mul_f64 v[94:95], v[144:145], s[6:7]
	v_fma_f64 v[254:255], s[16:17], v[190:191], v[90:91]
	v_add_f64 v[88:89], v[2:3], v[88:89]
	v_fma_f64 v[90:91], s[28:29], v[102:103], v[94:95]
	v_mul_f64 v[218:219], v[152:153], s[16:17]
	v_add_f64 v[88:89], v[90:91], v[88:89]
	v_fma_f64 v[90:91], s[56:57], v[104:105], v[218:219]
	v_mul_f64 v[220:221], v[160:161], s[18:19]
	;; [unrolled: 3-line block ×4, first 2 shown]
	v_accvgpr_write_b32 a110, v118
	v_add_f64 v[88:89], v[90:91], v[88:89]
	v_fma_f64 v[90:91], s[52:53], v[242:243], v[226:227]
	v_mul_f64 v[230:231], v[180:181], s[14:15]
	v_accvgpr_write_b32 a111, v119
	v_add_f64 v[118:119], v[254:255], v[232:233]
	v_add_f64 v[88:89], v[90:91], v[88:89]
	v_fma_f64 v[90:91], s[24:25], v[114:115], v[230:231]
	v_mul_f64 v[232:233], v[96:97], s[40:41]
	v_add_f64 v[88:89], v[90:91], v[88:89]
	v_fma_f64 v[90:91], s[22:23], v[124:125], v[232:233]
	v_mul_f64 v[234:235], v[98:99], s[48:49]
	v_add_f64 v[90:91], v[0:1], v[90:91]
	v_fma_f64 v[236:237], s[6:7], v[138:139], v[234:235]
	v_add_f64 v[90:91], v[236:237], v[90:91]
	v_mul_f64 v[236:237], v[106:107], s[34:35]
	v_fma_f64 v[238:239], s[16:17], v[150:151], v[236:237]
	v_fmac_f64_e32 v[92:93], s[40:41], v[100:101]
	v_add_f64 v[90:91], v[238:239], v[90:91]
	v_mul_f64 v[238:239], v[110:111], s[58:59]
	v_fmac_f64_e32 v[94:95], s[48:49], v[102:103]
	v_add_f64 v[92:93], v[2:3], v[92:93]
	v_fma_f64 v[244:245], s[18:19], v[158:159], v[238:239]
	v_add_f64 v[92:93], v[94:95], v[92:93]
	v_fmac_f64_e32 v[218:219], s[34:35], v[104:105]
	v_add_f64 v[90:91], v[244:245], v[90:91]
	v_mul_f64 v[244:245], v[228:229], s[20:21]
	v_add_f64 v[92:93], v[218:219], v[92:93]
	v_fma_f64 v[218:219], v[124:125], s[22:23], -v[232:233]
	v_fma_f64 v[246:247], s[0:1], v[162:163], v[244:245]
	v_fma_f64 v[94:95], v[138:139], s[6:7], -v[234:235]
	v_add_f64 v[218:219], v[0:1], v[218:219]
	v_add_f64 v[90:91], v[246:247], v[90:91]
	v_mul_f64 v[246:247], v[248:249], s[42:43]
	v_fmac_f64_e32 v[220:221], s[58:59], v[108:109]
	v_add_f64 v[94:95], v[94:95], v[218:219]
	v_fma_f64 v[218:219], v[150:151], s[16:17], -v[236:237]
	v_fma_f64 v[250:251], s[26:27], v[170:171], v[246:247]
	v_add_f64 v[92:93], v[220:221], v[92:93]
	v_fmac_f64_e32 v[224:225], s[20:21], v[222:223]
	v_add_f64 v[94:95], v[218:219], v[94:95]
	v_fma_f64 v[218:219], v[158:159], s[18:19], -v[238:239]
	v_add_f64 v[90:91], v[250:251], v[90:91]
	v_mul_f64 v[250:251], v[116:117], s[54:55]
	v_add_f64 v[92:93], v[224:225], v[92:93]
	v_fmac_f64_e32 v[226:227], s[42:43], v[242:243]
	v_add_f64 v[94:95], v[218:219], v[94:95]
	v_fma_f64 v[218:219], v[162:163], s[0:1], -v[244:245]
	v_fma_f64 v[252:253], s[14:15], v[176:177], v[250:251]
	v_mul_f64 v[254:255], v[198:199], s[10:11]
	v_accvgpr_write_b32 a106, v112
	v_add_f64 v[92:93], v[226:227], v[92:93]
	v_fmac_f64_e32 v[230:231], s[54:55], v[114:115]
	v_add_f64 v[94:95], v[218:219], v[94:95]
	v_fma_f64 v[218:219], v[170:171], s[26:27], -v[246:247]
	v_add_f64 v[252:253], v[252:253], v[90:91]
	v_fma_f64 v[90:91], s[46:47], v[146:147], v[254:255]
	v_accvgpr_write_b32 a107, v113
	v_mul_f64 v[112:113], v[148:149], s[36:37]
	v_add_f64 v[92:93], v[230:231], v[92:93]
	v_add_f64 v[94:95], v[218:219], v[94:95]
	v_fma_f64 v[218:219], v[176:177], s[14:15], -v[250:251]
	v_fmac_f64_e32 v[254:255], s[36:37], v[146:147]
	v_add_f64 v[90:91], v[90:91], v[88:89]
	v_fma_f64 v[88:89], s[10:11], v[190:191], v[112:113]
	v_add_f64 v[218:219], v[218:219], v[94:95]
	v_add_f64 v[94:95], v[254:255], v[92:93]
	v_fma_f64 v[92:93], v[190:191], s[10:11], -v[112:113]
	v_mul_f64 v[112:113], v[126:127], s[18:19]
	v_add_f64 v[92:93], v[92:93], v[218:219]
	v_fma_f64 v[218:219], s[58:59], v[100:101], v[112:113]
	v_mul_f64 v[220:221], v[144:145], s[10:11]
	v_add_f64 v[218:219], v[2:3], v[218:219]
	v_fma_f64 v[224:225], s[36:37], v[102:103], v[220:221]
	v_add_f64 v[218:219], v[224:225], v[218:219]
	v_mul_f64 v[224:225], v[152:153], s[0:1]
	v_fma_f64 v[226:227], s[50:51], v[104:105], v[224:225]
	v_add_f64 v[218:219], v[226:227], v[218:219]
	v_mul_f64 v[226:227], v[160:161], s[22:23]
	;; [unrolled: 3-line block ×5, first 2 shown]
	v_fma_f64 v[236:237], s[52:53], v[114:115], v[234:235]
	v_mul_f64 v[238:239], v[96:97], s[38:39]
	v_fmac_f64_e32 v[112:113], s[38:39], v[100:101]
	v_add_f64 v[218:219], v[236:237], v[218:219]
	v_mul_f64 v[236:237], v[98:99], s[46:47]
	v_fma_f64 v[96:97], s[18:19], v[124:125], v[238:239]
	v_fmac_f64_e32 v[224:225], s[20:21], v[104:105]
	v_add_f64 v[100:101], v[2:3], v[112:113]
	v_fma_f64 v[104:105], v[124:125], s[18:19], -v[238:239]
	v_mul_f64 v[112:113], v[144:145], s[22:23]
	v_add_f64 v[96:97], v[0:1], v[96:97]
	v_fma_f64 v[98:99], s[10:11], v[138:139], v[236:237]
	v_mul_f64 v[106:107], v[106:107], s[20:21]
	v_fmac_f64_e32 v[220:221], s[46:47], v[102:103]
	v_fma_f64 v[102:103], v[138:139], s[10:11], -v[236:237]
	v_add_f64 v[104:105], v[0:1], v[104:105]
	v_add_f64 v[72:73], v[72:73], v[112:113]
	v_mul_f64 v[112:113], v[126:127], s[10:11]
	v_add_f64 v[96:97], v[98:99], v[96:97]
	v_fma_f64 v[98:99], s[0:1], v[150:151], v[106:107]
	v_mul_f64 v[110:111], v[110:111], s[40:41]
	v_add_f64 v[102:103], v[102:103], v[104:105]
	v_fma_f64 v[104:105], v[150:151], s[0:1], -v[106:107]
	v_add_f64 v[112:113], v[202:203], v[112:113]
	v_add_f64 v[96:97], v[98:99], v[96:97]
	v_fma_f64 v[98:99], s[22:23], v[158:159], v[110:111]
	v_add_f64 v[102:103], v[104:105], v[102:103]
	v_fma_f64 v[104:105], v[158:159], s[22:23], -v[110:111]
	v_mul_f64 v[106:107], v[180:181], s[0:1]
	v_mul_f64 v[110:111], v[152:153], s[14:15]
	v_add_f64 v[112:113], v[2:3], v[112:113]
	v_mul_f64 v[228:229], v[228:229], s[56:57]
	v_fmac_f64_e32 v[234:235], s[42:43], v[114:115]
	v_fmac_f64_e32 v[226:227], s[40:41], v[108:109]
	v_add_f64 v[100:101], v[220:221], v[100:101]
	v_add_f64 v[78:79], v[78:79], v[106:107]
	v_mul_f64 v[106:107], v[172:173], s[16:17]
	v_mul_f64 v[108:109], v[160:161], s[6:7]
	v_add_f64 v[110:111], v[206:207], v[110:111]
	v_add_f64 v[72:73], v[72:73], v[112:113]
	v_mul_f64 v[114:115], v[124:125], s[10:11]
	v_accvgpr_write_b32 a58, v118
	v_add_f64 v[96:97], v[98:99], v[96:97]
	v_fma_f64 v[98:99], s[16:17], v[162:163], v[228:229]
	v_mul_f64 v[244:245], v[248:249], s[24:25]
	v_add_f64 v[100:101], v[224:225], v[100:101]
	v_add_f64 v[102:103], v[104:105], v[102:103]
	v_fma_f64 v[104:105], v[162:163], s[16:17], -v[228:229]
	v_add_f64 v[76:77], v[76:77], v[106:107]
	v_mul_f64 v[106:107], v[166:167], s[26:27]
	v_add_f64 v[108:109], v[210:211], v[108:109]
	v_add_f64 v[72:73], v[110:111], v[72:73]
	v_mul_f64 v[112:113], v[138:139], s[22:23]
	v_add_f64 v[114:115], v[114:115], -v[192:193]
	v_accvgpr_write_b32 a59, v119
	v_accvgpr_write_b32 a60, v120
	;; [unrolled: 1-line block ×3, first 2 shown]
	v_add_f64 v[96:97], v[98:99], v[96:97]
	v_fma_f64 v[98:99], s[14:15], v[170:171], v[244:245]
	v_mul_f64 v[116:117], v[116:117], s[42:43]
	v_fmac_f64_e32 v[230:231], s[56:57], v[222:223]
	v_add_f64 v[100:101], v[226:227], v[100:101]
	v_add_f64 v[102:103], v[104:105], v[102:103]
	v_fma_f64 v[104:105], v[170:171], s[14:15], -v[244:245]
	v_add_f64 v[106:107], v[214:215], v[106:107]
	v_add_f64 v[72:73], v[108:109], v[72:73]
	v_mul_f64 v[110:111], v[150:151], s[14:15]
	v_add_f64 v[112:113], v[112:113], -v[194:195]
	v_add_f64 v[114:115], v[0:1], v[114:115]
	v_accvgpr_read_b32 v119, a83
	v_add_f64 v[96:97], v[98:99], v[96:97]
	v_fma_f64 v[98:99], s[26:27], v[176:177], v[116:117]
	v_fmac_f64_e32 v[232:233], s[24:25], v[242:243]
	v_add_f64 v[100:101], v[230:231], v[100:101]
	v_add_f64 v[102:103], v[104:105], v[102:103]
	v_fma_f64 v[104:105], v[176:177], s[26:27], -v[116:117]
	v_add_f64 v[72:73], v[106:107], v[72:73]
	v_mul_f64 v[106:107], v[170:171], s[16:17]
	v_mul_f64 v[108:109], v[158:159], s[6:7]
	v_add_f64 v[110:111], v[110:111], -v[196:197]
	v_add_f64 v[112:113], v[112:113], v[114:115]
	v_mul_f64 v[116:117], v[138:139], s[26:27]
	v_accvgpr_read_b32 v118, a82
	v_mul_f64 v[246:247], v[198:199], s[6:7]
	v_add_f64 v[100:101], v[232:233], v[100:101]
	v_add_f64 v[74:75], v[106:107], -v[74:75]
	v_mul_f64 v[106:107], v[162:163], s[26:27]
	v_add_f64 v[108:109], v[108:109], -v[200:201]
	v_add_f64 v[110:111], v[110:111], v[112:113]
	v_mul_f64 v[114:115], v[126:127], s[16:17]
	v_add_f64 v[116:117], v[116:117], -v[118:119]
	v_accvgpr_read_b32 v119, a77
	v_add_f64 v[96:97], v[98:99], v[96:97]
	v_fma_f64 v[98:99], s[28:29], v[146:147], v[246:247]
	v_mul_f64 v[148:149], v[148:149], s[48:49]
	v_fmac_f64_e32 v[246:247], s[48:49], v[146:147]
	v_add_f64 v[100:101], v[234:235], v[100:101]
	v_add_f64 v[72:73], v[76:77], v[72:73]
	v_add_f64 v[106:107], v[106:107], -v[204:205]
	v_add_f64 v[108:109], v[108:109], v[110:111]
	v_mul_f64 v[112:113], v[144:145], s[26:27]
	v_add_f64 v[114:115], v[134:135], v[114:115]
	v_mul_f64 v[120:121], v[124:125], s[16:17]
	v_accvgpr_read_b32 v118, a76
	v_add_f64 v[104:105], v[104:105], v[102:103]
	v_add_f64 v[102:103], v[246:247], v[100:101]
	v_fma_f64 v[100:101], v[190:191], s[6:7], -v[148:149]
	v_add_f64 v[72:73], v[78:79], v[72:73]
	v_mul_f64 v[78:79], v[176:177], s[0:1]
	v_add_f64 v[106:107], v[106:107], v[108:109]
	v_mul_f64 v[110:111], v[152:153], s[10:11]
	v_add_f64 v[112:113], v[154:155], v[112:113]
	v_add_f64 v[114:115], v[2:3], v[114:115]
	v_add_f64 v[118:119], v[120:121], -v[118:119]
	v_add_f64 v[100:101], v[100:101], v[104:105]
	v_mul_f64 v[104:105], v[198:199], s[18:19]
	v_mul_f64 v[76:77], v[190:191], s[18:19]
	v_add_f64 v[78:79], v[78:79], -v[208:209]
	v_add_f64 v[74:75], v[74:75], v[106:107]
	v_mul_f64 v[108:109], v[160:161], s[0:1]
	v_add_f64 v[110:111], v[164:165], v[110:111]
	v_add_f64 v[112:113], v[112:113], v[114:115]
	v_mul_f64 v[114:115], v[150:151], s[10:11]
	v_add_f64 v[118:119], v[0:1], v[118:119]
	v_add_f64 v[104:105], v[216:217], v[104:105]
	v_add_f64 v[76:77], v[76:77], -v[212:213]
	v_add_f64 v[74:75], v[78:79], v[74:75]
	v_mul_f64 v[78:79], v[166:167], s[6:7]
	v_add_f64 v[108:109], v[174:175], v[108:109]
	v_add_f64 v[110:111], v[110:111], v[112:113]
	v_mul_f64 v[112:113], v[158:159], s[0:1]
	v_add_f64 v[114:115], v[114:115], -v[122:123]
	v_add_f64 v[116:117], v[116:117], v[118:119]
	v_add_f64 v[106:107], v[104:105], v[72:73]
	;; [unrolled: 1-line block ×3, first 2 shown]
	v_mul_f64 v[76:77], v[172:173], s[22:23]
	v_add_f64 v[78:79], v[182:183], v[78:79]
	v_add_f64 v[108:109], v[108:109], v[110:111]
	v_mul_f64 v[110:111], v[162:163], s[6:7]
	v_add_f64 v[112:113], v[112:113], -v[132:133]
	v_add_f64 v[114:115], v[114:115], v[116:117]
	v_mul_f64 v[74:75], v[180:181], s[18:19]
	v_add_f64 v[76:77], v[184:185], v[76:77]
	v_add_f64 v[78:79], v[78:79], v[108:109]
	v_mul_f64 v[108:109], v[170:171], s[22:23]
	v_add_f64 v[110:111], v[110:111], -v[136:137]
	v_add_f64 v[112:113], v[112:113], v[114:115]
	;; [unrolled: 6-line block ×3, first 2 shown]
	v_add_f64 v[72:73], v[188:189], v[72:73]
	v_add_f64 v[74:75], v[74:75], v[76:77]
	v_mul_f64 v[76:77], v[190:191], s[14:15]
	v_add_f64 v[78:79], v[78:79], -v[168:169]
	v_add_f64 v[108:109], v[108:109], v[110:111]
	v_add_f64 v[76:77], v[76:77], -v[178:179]
	v_add_f64 v[78:79], v[78:79], v[108:109]
	v_add_f64 v[110:111], v[72:73], v[74:75]
	v_accvgpr_read_b32 v75, a69
	v_add_f64 v[108:109], v[76:77], v[78:79]
	v_mul_f64 v[72:73], v[198:199], s[22:23]
	v_accvgpr_read_b32 v74, a68
	v_accvgpr_read_b32 v77, a65
	v_add_f64 v[72:73], v[74:75], v[72:73]
	v_mul_f64 v[74:75], v[180:181], s[16:17]
	v_accvgpr_read_b32 v76, a64
	;; [unrolled: 4-line block ×8, first 2 shown]
	v_add_f64 v[118:119], v[120:121], v[118:119]
	v_add_f64 v[118:119], v[2:3], v[118:119]
	v_add_f64 v[116:117], v[116:117], v[118:119]
	v_add_f64 v[114:115], v[114:115], v[116:117]
	v_add_f64 v[112:113], v[112:113], v[114:115]
	v_add_f64 v[78:79], v[78:79], v[112:113]
	v_add_f64 v[76:77], v[76:77], v[78:79]
	v_accvgpr_read_b32 v135, a55
	v_add_f64 v[74:75], v[74:75], v[76:77]
	v_mul_f64 v[76:77], v[190:191], s[22:23]
	v_accvgpr_read_b32 v134, a54
	v_accvgpr_read_b32 v137, a49
	v_mul_f64 v[118:119], v[126:127], s[0:1]
	v_mul_f64 v[122:123], v[126:127], s[14:15]
	;; [unrolled: 1-line block ×5, first 2 shown]
	v_add_f64 v[76:77], v[76:77], -v[134:135]
	v_mul_f64 v[134:135], v[176:177], s[16:17]
	v_accvgpr_read_b32 v136, a48
	v_accvgpr_read_b32 v139, a47
	v_mul_f64 v[112:113], v[144:145], s[14:15]
	v_mul_f64 v[78:79], v[144:145], s[16:17]
	v_add_f64 v[134:135], v[134:135], -v[136:137]
	v_mul_f64 v[136:137], v[170:171], s[0:1]
	v_accvgpr_read_b32 v138, a46
	v_accvgpr_read_b32 v145, a45
	;; [unrolled: 1-line block ×3, first 2 shown]
	v_mul_f64 v[120:121], v[124:125], s[0:1]
	v_mul_f64 v[116:117], v[124:125], s[14:15]
	;; [unrolled: 1-line block ×3, first 2 shown]
	v_add_f64 v[136:137], v[136:137], -v[138:139]
	v_mul_f64 v[138:139], v[162:163], s[14:15]
	v_accvgpr_read_b32 v144, a44
	v_accvgpr_read_b32 v147, a43
	;; [unrolled: 1-line block ×4, first 2 shown]
	v_add_f64 v[98:99], v[98:99], v[218:219]
	v_fma_f64 v[218:219], s[6:7], v[190:191], v[148:149]
	v_add_f64 v[138:139], v[138:139], -v[144:145]
	v_mul_f64 v[144:145], v[158:159], s[10:11]
	v_accvgpr_read_b32 v146, a42
	v_accvgpr_read_b32 v149, a41
	;; [unrolled: 1-line block ×3, first 2 shown]
	v_add_f64 v[124:125], v[124:125], -v[156:157]
	v_add_f64 v[144:145], v[144:145], -v[146:147]
	v_mul_f64 v[146:147], v[150:151], s[26:27]
	v_accvgpr_read_b32 v148, a40
	v_add_f64 v[132:133], v[132:133], -v[154:155]
	v_add_f64 v[124:125], v[0:1], v[124:125]
	v_add_f64 v[146:147], v[146:147], -v[148:149]
	v_add_f64 v[124:125], v[132:133], v[124:125]
	v_add_f64 v[124:125], v[146:147], v[124:125]
	;; [unrolled: 1-line block ×6, first 2 shown]
	v_mul_f64 v[144:145], v[166:167], s[10:11]
	v_mul_f64 v[164:165], v[166:167], s[22:23]
	v_mul_f64 v[138:139], v[170:171], s[18:19]
	v_mul_f64 v[166:167], v[170:171], s[10:11]
	v_add_f64 v[74:75], v[72:73], v[74:75]
	v_add_f64 v[72:73], v[76:77], v[124:125]
	v_mul_f64 v[124:125], v[180:181], s[22:23]
	v_mul_f64 v[170:171], v[180:181], s[6:7]
	v_accvgpr_read_b32 v181, a33
	v_accvgpr_read_b32 v180, a32
	v_add_f64 v[170:171], v[180:181], v[170:171]
	v_accvgpr_read_b32 v181, a31
	v_mul_f64 v[168:169], v[172:173], s[10:11]
	v_accvgpr_read_b32 v180, a30
	v_add_f64 v[168:169], v[180:181], v[168:169]
	v_accvgpr_read_b32 v181, a27
	v_accvgpr_read_b32 v180, a26
	v_add_f64 v[164:165], v[180:181], v[164:165]
	v_accvgpr_read_b32 v181, a23
	v_mul_f64 v[132:133], v[160:161], s[16:17]
	v_mul_f64 v[160:161], v[160:161], s[26:27]
	v_accvgpr_read_b32 v180, a22
	v_add_f64 v[160:161], v[180:181], v[160:161]
	v_accvgpr_read_b32 v181, a19
	v_mul_f64 v[154:155], v[152:153], s[6:7]
	v_mul_f64 v[152:153], v[152:153], s[18:19]
	v_accvgpr_read_b32 v180, a18
	v_add_f64 v[152:153], v[180:181], v[152:153]
	v_accvgpr_read_b32 v181, a15
	v_accvgpr_read_b32 v180, a14
	v_add_f64 v[78:79], v[180:181], v[78:79]
	v_accvgpr_read_b32 v181, a13
	v_accvgpr_read_b32 v180, a12
	v_add_f64 v[122:123], v[180:181], v[122:123]
	v_add_f64 v[122:123], v[2:3], v[122:123]
	;; [unrolled: 1-line block ×5, first 2 shown]
	v_accvgpr_read_b32 v161, a17
	v_mul_f64 v[146:147], v[162:163], s[10:11]
	v_mul_f64 v[162:163], v[162:163], s[22:23]
	v_accvgpr_read_b32 v160, a16
	v_add_f64 v[160:161], v[162:163], -v[160:161]
	v_accvgpr_read_b32 v163, a11
	v_mul_f64 v[156:157], v[158:159], s[16:17]
	v_mul_f64 v[158:159], v[158:159], s[26:27]
	v_accvgpr_read_b32 v162, a10
	v_add_f64 v[158:159], v[158:159], -v[162:163]
	;; [unrolled: 5-line block ×3, first 2 shown]
	v_accvgpr_read_b32 v163, a7
	v_accvgpr_read_b32 v162, a6
	v_add_f64 v[114:115], v[114:115], -v[162:163]
	v_accvgpr_read_b32 v163, a5
	v_accvgpr_read_b32 v162, a4
	v_add_f64 v[116:117], v[116:117], -v[162:163]
	v_accvgpr_read_b32 v153, a25
	v_add_f64 v[116:117], v[0:1], v[116:117]
	v_mul_f64 v[76:77], v[176:177], s[6:7]
	v_accvgpr_read_b32 v152, a24
	v_add_f64 v[114:115], v[114:115], v[116:117]
	v_add_f64 v[76:77], v[76:77], -v[152:153]
	v_accvgpr_read_b32 v153, a21
	v_add_f64 v[114:115], v[150:151], v[114:115]
	v_accvgpr_read_b32 v152, a20
	v_add_f64 v[114:115], v[158:159], v[114:115]
	v_accvgpr_read_b32 v117, a103
	v_accvgpr_read_b32 v123, a29
	v_add_f64 v[152:153], v[166:167], -v[152:153]
	v_add_f64 v[114:115], v[160:161], v[114:115]
	v_accvgpr_read_b32 v116, a102
	v_mul_f64 v[178:179], v[190:191], s[0:1]
	v_accvgpr_read_b32 v122, a28
	v_add_f64 v[114:115], v[152:153], v[114:115]
	v_add_f64 v[116:117], v[116:117], v[124:125]
	v_accvgpr_read_b32 v125, a97
	v_add_f64 v[122:123], v[178:179], -v[122:123]
	v_add_f64 v[76:77], v[76:77], v[114:115]
	v_accvgpr_read_b32 v124, a96
	v_add_f64 v[76:77], v[122:123], v[76:77]
	v_accvgpr_read_b32 v123, a101
	;; [unrolled: 2-line block ×3, first 2 shown]
	v_mul_f64 v[136:137], v[172:173], s[18:19]
	v_accvgpr_read_b32 v122, a100
	v_accvgpr_read_b32 v144, a106
	v_add_f64 v[122:123], v[122:123], v[136:137]
	v_accvgpr_read_b32 v137, a91
	v_add_f64 v[112:113], v[144:145], v[112:113]
	v_accvgpr_read_b32 v145, a79
	v_accvgpr_read_b32 v136, a90
	;; [unrolled: 1-line block ×3, first 2 shown]
	v_add_f64 v[132:133], v[136:137], v[132:133]
	v_accvgpr_read_b32 v137, a89
	v_add_f64 v[118:119], v[144:145], v[118:119]
	v_accvgpr_read_b32 v136, a88
	v_add_f64 v[118:119], v[2:3], v[118:119]
	v_add_f64 v[136:137], v[136:137], v[154:155]
	;; [unrolled: 1-line block ×8, first 2 shown]
	v_accvgpr_read_b32 v117, a95
	v_mul_f64 v[134:135], v[176:177], s[22:23]
	v_accvgpr_read_b32 v116, a94
	v_add_f64 v[116:117], v[134:135], -v[116:117]
	v_accvgpr_read_b32 v135, a71
	v_accvgpr_read_b32 v134, a70
	v_add_f64 v[126:127], v[126:127], -v[134:135]
	v_accvgpr_read_b32 v135, a67
	v_accvgpr_read_b32 v134, a66
	v_add_f64 v[120:121], v[120:121], -v[134:135]
	v_add_f64 v[120:121], v[0:1], v[120:121]
	v_add_f64 v[2:3], v[2:3], v[10:11]
	;; [unrolled: 1-line block ×17, first 2 shown]
	v_accvgpr_read_b32 v133, a73
	v_add_f64 v[2:3], v[38:39], v[2:3]
	v_add_f64 v[0:1], v[36:37], v[0:1]
	v_accvgpr_read_b32 v125, a75
	v_accvgpr_read_b32 v132, a72
	v_add_f64 v[2:3], v[46:47], v[2:3]
	v_add_f64 v[0:1], v[44:45], v[0:1]
	v_accvgpr_read_b32 v115, a105
	v_accvgpr_read_b32 v123, a81
	;; [unrolled: 1-line block ×3, first 2 shown]
	v_add_f64 v[132:133], v[148:149], -v[132:133]
	v_add_f64 v[120:121], v[126:127], v[120:121]
	v_add_f64 v[2:3], v[42:43], v[2:3]
	;; [unrolled: 1-line block ×3, first 2 shown]
	v_mul_f64 v[176:177], v[198:199], s[26:27]
	v_accvgpr_read_b32 v114, a104
	v_accvgpr_read_b32 v119, a93
	;; [unrolled: 1-line block ×3, first 2 shown]
	v_add_f64 v[124:125], v[156:157], -v[124:125]
	v_add_f64 v[120:121], v[132:133], v[120:121]
	v_add_f64 v[2:3], v[50:51], v[2:3]
	;; [unrolled: 1-line block ×3, first 2 shown]
	v_accvgpr_read_b32 v245, a1
	v_accvgpr_read_b32 v175, a35
	v_add_f64 v[114:115], v[114:115], v[176:177]
	v_accvgpr_read_b32 v118, a92
	v_add_f64 v[122:123], v[146:147], -v[122:123]
	v_add_f64 v[120:121], v[124:125], v[120:121]
	v_add_f64 v[2:3], v[54:55], v[2:3]
	;; [unrolled: 1-line block ×3, first 2 shown]
	v_accvgpr_read_b32 v244, a0
	v_mul_f64 v[172:173], v[198:199], s[0:1]
	v_accvgpr_read_b32 v174, a34
	v_add_f64 v[78:79], v[164:165], v[78:79]
	v_add_f64 v[114:115], v[114:115], v[112:113]
	v_accvgpr_read_b32 v113, a99
	v_add_f64 v[118:119], v[138:139], -v[118:119]
	v_add_f64 v[120:121], v[122:123], v[120:121]
	v_add_f64 v[2:3], v[58:59], v[2:3]
	;; [unrolled: 1-line block ×4, first 2 shown]
	v_mul_f64 v[174:175], v[190:191], s[26:27]
	v_add_f64 v[78:79], v[168:169], v[78:79]
	v_accvgpr_read_b32 v112, a98
	v_add_f64 v[118:119], v[118:119], v[120:121]
	v_add_f64 v[2:3], v[62:63], v[2:3]
	;; [unrolled: 1-line block ×3, first 2 shown]
	v_mul_lo_u16_e32 v4, 17, v244
	v_accvgpr_read_b32 v254, a2
	v_add_f64 v[78:79], v[170:171], v[78:79]
	v_add_f64 v[112:113], v[174:175], -v[112:113]
	v_add_f64 v[116:117], v[116:117], v[118:119]
	v_add_f64 v[2:3], v[70:71], v[2:3]
	;; [unrolled: 1-line block ×3, first 2 shown]
	v_lshlrev_b32_e32 v4, 4, v4
	v_add_f64 v[88:89], v[88:89], v[252:253]
	v_add_f64 v[96:97], v[218:219], v[96:97]
	;; [unrolled: 1-line block ×4, first 2 shown]
	ds_write_b128 v4, v[0:3]
	ds_write_b128 v4, v[112:115] offset:16
	ds_write_b128 v4, v[76:79] offset:32
	;; [unrolled: 1-line block ×16, first 2 shown]
.LBB0_7:
	s_or_b64 exec, exec, s[30:31]
	s_movk_i32 s0, 0xf1
	v_mul_lo_u16_sdwa v0, v244, s0 dst_sel:DWORD dst_unused:UNUSED_PAD src0_sel:BYTE_0 src1_sel:DWORD
	v_lshrrev_b16_e32 v70, 12, v0
	v_mul_lo_u16_e32 v0, 17, v70
	v_sub_u16_e32 v0, v244, v0
	v_and_b32_e32 v71, 0xff, v0
	v_mad_u64_u32 v[0:1], s[0:1], v71, 48, s[2:3]
	s_mov_b64 s[0:1], 0xaa
	s_nop 0
	v_lshl_add_u64 v[164:165], v[244:245], 0, s[0:1]
	s_mov_b32 s0, 0xf0f1
	v_mul_u32_u24_sdwa v72, v164, s0 dst_sel:DWORD dst_unused:UNUSED_PAD src0_sel:WORD_0 src1_sel:DWORD
	v_lshrrev_b32_e32 v73, 20, v72
	s_load_dwordx4 s[4:7], s[4:5], 0x0
	s_waitcnt lgkmcnt(0)
	s_barrier
	global_load_dwordx4 v[98:101], v[0:1], off offset:16
	global_load_dwordx4 v[108:111], v[0:1], off
	global_load_dwordx4 v[124:127], v[0:1], off offset:32
	v_mul_lo_u16_e32 v0, 17, v73
	v_sub_u16_e32 v74, v164, v0
	v_mul_lo_u16_e32 v0, 48, v74
	v_mov_b32_e32 v1, 0
	v_lshl_add_u64 v[2:3], s[2:3], 0, v[0:1]
	s_mov_b64 s[10:11], 0x154
	global_load_dwordx4 v[102:105], v[2:3], off
	global_load_dwordx4 v[88:91], v[2:3], off offset:32
	global_load_dwordx4 v[92:95], v[2:3], off offset:16
	v_lshl_add_u64 v[2:3], v[244:245], 0, s[10:11]
	v_mul_u32_u24_sdwa v3, v2, s0 dst_sel:DWORD dst_unused:UNUSED_PAD src0_sel:WORD_0 src1_sel:DWORD
	v_lshrrev_b32_e32 v75, 20, v3
	v_mul_lo_u16_e32 v0, 17, v75
	v_sub_u16_e32 v76, v2, v0
	v_mul_lo_u16_e32 v0, 48, v76
	v_lshl_add_u64 v[4:5], s[2:3], 0, v[0:1]
	global_load_dwordx4 v[120:123], v[4:5], off
	global_load_dwordx4 v[116:119], v[4:5], off offset:16
	global_load_dwordx4 v[112:115], v[4:5], off offset:32
	v_mov_b32_e32 v0, 4
	v_lshlrev_b32_sdwa v96, v0, v244 dst_sel:DWORD dst_unused:UNUSED_PAD src0_sel:DWORD src1_sel:WORD_0
	ds_read_b128 v[4:7], v96
	ds_read_b128 v[8:11], v96 offset:2720
	ds_read_b128 v[12:15], v96 offset:16320
	;; [unrolled: 1-line block ×11, first 2 shown]
	s_movk_i32 s1, 0x44
	v_mul_u32_u24_e32 v0, 0x44, v70
	s_waitcnt lgkmcnt(0)
	s_barrier
	v_lshrrev_b32_e32 v78, 22, v3
	s_mov_b64 s[10:11], 0x1fe
                                        ; implicit-def: $vgpr156_vgpr157
                                        ; implicit-def: $vgpr160_vgpr161
                                        ; implicit-def: $vgpr152_vgpr153
	s_waitcnt vmcnt(8)
	v_mul_f64 v[56:57], v[14:15], v[100:101]
	v_mul_f64 v[58:59], v[12:13], v[100:101]
	s_waitcnt vmcnt(6)
	v_mul_f64 v[60:61], v[38:39], v[126:127]
	v_mul_f64 v[62:63], v[36:37], v[126:127]
	;; [unrolled: 1-line block ×4, first 2 shown]
	v_fma_f64 v[12:13], v[12:13], v[98:99], -v[56:57]
	v_fmac_f64_e32 v[58:59], v[14:15], v[98:99]
	v_fma_f64 v[14:15], v[36:37], v[124:125], -v[60:61]
	v_fmac_f64_e32 v[62:63], v[38:39], v[124:125]
	s_waitcnt vmcnt(5)
	v_mul_f64 v[36:37], v[28:29], v[104:105]
	s_waitcnt vmcnt(3)
	v_mul_f64 v[38:39], v[18:19], v[94:95]
	v_mul_f64 v[56:57], v[46:47], v[90:91]
	v_fma_f64 v[20:21], v[20:21], v[108:109], -v[52:53]
	v_fmac_f64_e32 v[54:55], v[22:23], v[108:109]
	v_mul_f64 v[22:23], v[30:31], v[104:105]
	v_mul_f64 v[52:53], v[16:17], v[94:95]
	;; [unrolled: 1-line block ×3, first 2 shown]
	v_fmac_f64_e32 v[36:37], v[30:31], v[102:103]
	v_fma_f64 v[30:31], v[16:17], v[92:93], -v[38:39]
	v_fma_f64 v[38:39], v[44:45], v[88:89], -v[56:57]
	s_waitcnt vmcnt(2)
	v_mul_f64 v[16:17], v[34:35], v[122:123]
	v_mul_f64 v[44:45], v[32:33], v[122:123]
	v_fma_f64 v[68:69], v[32:33], v[120:121], -v[16:17]
	v_fmac_f64_e32 v[44:45], v[34:35], v[120:121]
	v_add_f64 v[32:33], v[6:7], -v[58:59]
	v_add_f64 v[34:35], v[54:55], -v[62:63]
	v_fma_f64 v[28:29], v[28:29], v[102:103], -v[22:23]
	v_fmac_f64_e32 v[52:53], v[18:19], v[92:93]
	v_fmac_f64_e32 v[60:61], v[46:47], v[88:89]
	s_waitcnt vmcnt(1)
	v_mul_f64 v[18:19], v[42:43], v[118:119]
	v_mul_f64 v[46:47], v[40:41], v[118:119]
	s_waitcnt vmcnt(0)
	v_mul_f64 v[22:23], v[50:51], v[114:115]
	v_fma_f64 v[16:17], v[6:7], 2.0, -v[32:33]
	v_fma_f64 v[6:7], v[54:55], 2.0, -v[34:35]
	v_accvgpr_write_b32 a24, v102
	v_mul_f64 v[56:57], v[48:49], v[114:115]
	v_fma_f64 v[40:41], v[40:41], v[116:117], -v[18:19]
	v_fmac_f64_e32 v[46:47], v[42:43], v[116:117]
	v_fma_f64 v[42:43], v[48:49], v[112:113], -v[22:23]
	v_add_f64 v[22:23], v[4:5], -v[12:13]
	v_add_f64 v[18:19], v[20:21], -v[14:15]
	;; [unrolled: 1-line block ×3, first 2 shown]
	v_accvgpr_write_b32 a25, v103
	v_accvgpr_write_b32 a26, v104
	;; [unrolled: 1-line block ×3, first 2 shown]
	v_fmac_f64_e32 v[56:57], v[50:51], v[112:113]
	v_fma_f64 v[12:13], v[4:5], 2.0, -v[22:23]
	v_fma_f64 v[4:5], v[20:21], 2.0, -v[18:19]
	v_fma_f64 v[14:15], v[16:17], 2.0, -v[6:7]
	v_add_f64 v[16:17], v[22:23], -v[34:35]
	v_add_f64 v[18:19], v[32:33], v[18:19]
	v_add_f64 v[48:49], v[8:9], -v[30:31]
	v_add_f64 v[50:51], v[10:11], -v[52:53]
	v_add_f64 v[34:35], v[28:29], -v[38:39]
	v_add_f64 v[38:39], v[36:37], -v[60:61]
	v_add_lshl_u32 v102, v0, v71, 4
	v_mad_legacy_u16 v0, v73, s1, v74
	v_fma_f64 v[20:21], v[22:23], 2.0, -v[16:17]
	v_fma_f64 v[22:23], v[32:33], 2.0, -v[18:19]
	;; [unrolled: 1-line block ×6, first 2 shown]
	v_lshlrev_b32_e32 v97, 4, v0
	v_mad_legacy_u16 v0, v75, s1, v76
	s_movk_i32 s1, 0x79
	v_add_f64 v[8:9], v[30:31], -v[8:9]
	v_add_f64 v[10:11], v[32:33], -v[10:11]
	v_add_f64 v[34:35], v[50:51], v[34:35]
	v_lshlrev_b32_e32 v103, 4, v0
	v_mul_lo_u16_sdwa v0, v244, s1 dst_sel:DWORD dst_unused:UNUSED_PAD src0_sel:BYTE_0 src1_sel:DWORD
	v_fma_f64 v[28:29], v[30:31], 2.0, -v[8:9]
	v_fma_f64 v[30:31], v[32:33], 2.0, -v[10:11]
	v_add_f64 v[32:33], v[48:49], -v[38:39]
	v_fma_f64 v[38:39], v[50:51], 2.0, -v[34:35]
	v_add_f64 v[50:51], v[26:27], -v[46:47]
	v_add_f64 v[54:55], v[44:45], -v[56:57]
	v_lshrrev_b16_e32 v74, 13, v0
	v_fma_f64 v[36:37], v[48:49], 2.0, -v[32:33]
	v_add_f64 v[48:49], v[24:25], -v[40:41]
	v_fma_f64 v[46:47], v[26:27], 2.0, -v[50:51]
	v_add_f64 v[52:53], v[68:69], -v[42:43]
	v_fma_f64 v[26:27], v[44:45], 2.0, -v[54:55]
	v_mul_lo_u16_e32 v0, 0x44, v74
	v_fma_f64 v[40:41], v[24:25], 2.0, -v[48:49]
	v_fma_f64 v[24:25], v[68:69], 2.0, -v[52:53]
	v_add_f64 v[26:27], v[46:47], -v[26:27]
	v_sub_u16_e32 v0, v244, v0
	v_add_f64 v[4:5], v[12:13], -v[4:5]
	v_add_f64 v[24:25], v[40:41], -v[24:25]
	v_fma_f64 v[42:43], v[46:47], 2.0, -v[26:27]
	v_add_f64 v[46:47], v[50:51], v[52:53]
	v_and_b32_e32 v75, 0xff, v0
	v_fma_f64 v[12:13], v[12:13], 2.0, -v[4:5]
	v_fma_f64 v[40:41], v[40:41], 2.0, -v[24:25]
	v_add_f64 v[44:45], v[48:49], -v[54:55]
	v_fma_f64 v[50:51], v[50:51], 2.0, -v[46:47]
	v_lshlrev_b32_e32 v0, 5, v75
	v_lshrrev_b32_e32 v76, 22, v72
	v_fma_f64 v[48:49], v[48:49], 2.0, -v[44:45]
	ds_write_b128 v102, v[12:15]
	ds_write_b128 v102, v[20:23] offset:272
	ds_write_b128 v102, v[4:7] offset:544
	ds_write_b128 v102, v[16:19] offset:816
	ds_write_b128 v97, v[28:31]
	ds_write_b128 v97, v[36:39] offset:272
	ds_write_b128 v97, v[8:11] offset:544
	ds_write_b128 v97, v[32:35] offset:816
	;; [unrolled: 4-line block ×3, first 2 shown]
	s_waitcnt lgkmcnt(0)
	s_barrier
	global_load_dwordx4 v[50:53], v0, s[2:3] offset:832
	global_load_dwordx4 v[54:57], v0, s[2:3] offset:816
	v_mul_lo_u16_e32 v0, 0x44, v76
	v_sub_u16_e32 v77, v164, v0
	v_lshlrev_b16_e32 v0, 5, v77
	v_lshl_add_u64 v[4:5], s[2:3], 0, v[0:1]
	v_mul_lo_u16_e32 v0, 0x44, v78
	v_sub_u16_e32 v79, v2, v0
	v_lshlrev_b16_e32 v0, 5, v79
	v_accvgpr_write_b32 a20, v92
	v_accvgpr_write_b32 a16, v88
	;; [unrolled: 1-line block ×3, first 2 shown]
	v_lshl_add_u64 v[2:3], s[2:3], 0, v[0:1]
	v_accvgpr_write_b32 a21, v93
	v_accvgpr_write_b32 a22, v94
	;; [unrolled: 1-line block ×9, first 2 shown]
	global_load_dwordx4 v[58:61], v[4:5], off offset:832
	global_load_dwordx4 v[68:71], v[4:5], off offset:816
	;; [unrolled: 1-line block ×4, first 2 shown]
	v_lshl_add_u64 v[2:3], v[244:245], 0, s[10:11]
	v_mul_u32_u24_sdwa v0, v2, s0 dst_sel:DWORD dst_unused:UNUSED_PAD src0_sel:WORD_0 src1_sel:DWORD
	v_lshrrev_b32_e32 v88, 22, v0
	v_mul_lo_u16_e32 v0, 0x44, v88
	v_sub_u16_e32 v89, v2, v0
	v_lshlrev_b16_e32 v0, 5, v89
	v_accvgpr_write_b32 a36, v120
	v_accvgpr_write_b32 a32, v116
	v_lshl_add_u64 v[0:1], s[2:3], 0, v[0:1]
	v_accvgpr_write_b32 a37, v121
	v_accvgpr_write_b32 a38, v122
	;; [unrolled: 1-line block ×6, first 2 shown]
	global_load_dwordx4 v[120:123], v[0:1], off offset:816
	global_load_dwordx4 v[116:119], v[0:1], off offset:832
	ds_read_b128 v[0:3], v96
	ds_read_b128 v[4:7], v96 offset:2720
	ds_read_b128 v[8:11], v96 offset:10880
	;; [unrolled: 1-line block ×11, first 2 shown]
	s_mov_b32 s0, 0xe8584caa
	s_mov_b32 s1, 0x3febb67a
	;; [unrolled: 1-line block ×4, first 2 shown]
	s_waitcnt lgkmcnt(0)
	s_barrier
	s_waitcnt vmcnt(7)
	v_accvgpr_write_b32 a40, v50
	s_waitcnt vmcnt(6)
	v_mul_f64 v[44:45], v[10:11], v[56:57]
	v_fma_f64 v[44:45], v[8:9], v[54:55], -v[44:45]
	v_mul_f64 v[46:47], v[8:9], v[56:57]
	v_mul_f64 v[8:9], v[18:19], v[52:53]
	v_fma_f64 v[48:49], v[16:17], v[50:51], -v[8:9]
	v_mul_f64 v[16:17], v[16:17], v[52:53]
	v_accvgpr_write_b32 a44, v54
	v_accvgpr_write_b32 a41, v51
	;; [unrolled: 1-line block ×4, first 2 shown]
	v_fmac_f64_e32 v[16:17], v[18:19], v[50:51]
	v_accvgpr_write_b32 a45, v55
	v_accvgpr_write_b32 a46, v56
	v_accvgpr_write_b32 a47, v57
	v_fmac_f64_e32 v[46:47], v[10:11], v[54:55]
	v_add_f64 v[10:11], v[44:45], v[48:49]
	s_waitcnt vmcnt(5)
	v_mul_f64 v[56:57], v[20:21], v[60:61]
	s_waitcnt vmcnt(4)
	v_mul_f64 v[8:9], v[14:15], v[70:71]
	v_fma_f64 v[50:51], v[12:13], v[68:69], -v[8:9]
	v_mul_f64 v[8:9], v[22:23], v[60:61]
	v_fma_f64 v[54:55], v[20:21], v[58:59], -v[8:9]
	v_accvgpr_write_b32 a56, v58
	s_waitcnt vmcnt(2)
	v_mul_f64 v[8:9], v[30:31], v[114:115]
	v_accvgpr_write_b32 a57, v59
	v_accvgpr_write_b32 a58, v60
	;; [unrolled: 1-line block ×3, first 2 shown]
	v_fmac_f64_e32 v[56:57], v[22:23], v[58:59]
	v_fma_f64 v[58:59], v[28:29], v[112:113], -v[8:9]
	v_mul_f64 v[8:9], v[38:39], v[92:93]
	v_mul_f64 v[52:53], v[12:13], v[70:71]
	v_accvgpr_write_b32 a60, v68
	v_fma_f64 v[62:63], v[36:37], v[90:91], -v[8:9]
	v_accvgpr_write_b32 a61, v69
	s_waitcnt vmcnt(1)
	v_mul_f64 v[8:9], v[34:35], v[122:123]
	v_accvgpr_write_b32 a62, v70
	v_accvgpr_write_b32 a63, v71
	v_fmac_f64_e32 v[52:53], v[14:15], v[68:69]
	v_fma_f64 v[68:69], v[32:33], v[120:121], -v[8:9]
	s_waitcnt vmcnt(0)
	v_mul_f64 v[8:9], v[42:43], v[118:119]
	v_fma_f64 v[72:73], v[40:41], v[116:117], -v[8:9]
	v_add_f64 v[8:9], v[0:1], v[44:45]
	v_fmac_f64_e32 v[0:1], -0.5, v[10:11]
	v_add_f64 v[10:11], v[46:47], -v[16:17]
	v_fma_f64 v[12:13], s[0:1], v[10:11], v[0:1]
	v_fmac_f64_e32 v[0:1], s[10:11], v[10:11]
	v_add_f64 v[10:11], v[2:3], v[46:47]
	v_add_f64 v[14:15], v[46:47], v[16:17]
	;; [unrolled: 1-line block ×3, first 2 shown]
	v_fmac_f64_e32 v[2:3], -0.5, v[14:15]
	v_add_f64 v[16:17], v[44:45], -v[48:49]
	v_add_f64 v[18:19], v[50:51], v[54:55]
	v_mul_f64 v[60:61], v[28:29], v[114:115]
	v_mul_f64 v[36:37], v[36:37], v[92:93]
	v_fma_f64 v[14:15], s[10:11], v[16:17], v[2:3]
	v_fmac_f64_e32 v[2:3], s[0:1], v[16:17]
	v_add_f64 v[16:17], v[4:5], v[50:51]
	v_fmac_f64_e32 v[4:5], -0.5, v[18:19]
	v_add_f64 v[18:19], v[52:53], -v[56:57]
	v_add_f64 v[22:23], v[52:53], v[56:57]
	v_fmac_f64_e32 v[60:61], v[30:31], v[112:113]
	v_fmac_f64_e32 v[36:37], v[38:39], v[90:91]
	v_fma_f64 v[20:21], s[0:1], v[18:19], v[4:5]
	v_fmac_f64_e32 v[4:5], s[10:11], v[18:19]
	v_add_f64 v[18:19], v[6:7], v[52:53]
	v_fmac_f64_e32 v[6:7], -0.5, v[22:23]
	v_add_f64 v[28:29], v[50:51], -v[54:55]
	v_add_f64 v[30:31], v[58:59], v[62:63]
	v_mul_f64 v[70:71], v[32:33], v[122:123]
	v_fma_f64 v[22:23], s[10:11], v[28:29], v[6:7]
	v_fmac_f64_e32 v[6:7], s[0:1], v[28:29]
	v_add_f64 v[28:29], v[24:25], v[58:59]
	v_fmac_f64_e32 v[24:25], -0.5, v[30:31]
	v_add_f64 v[30:31], v[60:61], -v[36:37]
	v_fmac_f64_e32 v[70:71], v[34:35], v[120:121]
	v_mul_f64 v[40:41], v[40:41], v[118:119]
	v_fma_f64 v[32:33], s[0:1], v[30:31], v[24:25]
	v_fmac_f64_e32 v[24:25], s[10:11], v[30:31]
	v_add_f64 v[30:31], v[26:27], v[60:61]
	v_add_f64 v[34:35], v[60:61], v[36:37]
	v_fmac_f64_e32 v[40:41], v[42:43], v[116:117]
	v_add_f64 v[30:31], v[30:31], v[36:37]
	v_fmac_f64_e32 v[26:27], -0.5, v[34:35]
	v_add_f64 v[36:37], v[58:59], -v[62:63]
	v_add_f64 v[38:39], v[68:69], v[72:73]
	v_fma_f64 v[34:35], s[10:11], v[36:37], v[26:27]
	v_fmac_f64_e32 v[26:27], s[0:1], v[36:37]
	v_add_f64 v[36:37], v[104:105], v[68:69]
	v_fmac_f64_e32 v[104:105], -0.5, v[38:39]
	v_add_f64 v[38:39], v[70:71], -v[40:41]
	v_fma_f64 v[144:145], s[0:1], v[38:39], v[104:105]
	v_fmac_f64_e32 v[104:105], s[10:11], v[38:39]
	v_add_f64 v[38:39], v[106:107], v[70:71]
	v_add_f64 v[38:39], v[38:39], v[40:41]
	v_add_f64 v[40:41], v[70:71], v[40:41]
	v_fmac_f64_e32 v[106:107], -0.5, v[40:41]
	v_add_f64 v[40:41], v[68:69], -v[72:73]
	v_fma_f64 v[146:147], s[10:11], v[40:41], v[106:107]
	v_fmac_f64_e32 v[106:107], s[0:1], v[40:41]
	v_mul_u32_u24_e32 v40, 0xcc, v74
	v_add_f64 v[8:9], v[8:9], v[48:49]
	s_movk_i32 s0, 0xcc
	v_add_lshl_u32 v245, v40, v75, 4
	ds_write_b128 v245, v[8:11]
	ds_write_b128 v245, v[12:15] offset:1088
	ds_write_b128 v245, v[0:3] offset:2176
	v_mad_legacy_u16 v0, v76, s0, v77
	v_lshlrev_b32_e32 v255, 4, v0
	v_mad_legacy_u16 v0, v78, s0, v79
	v_add_f64 v[16:17], v[16:17], v[54:55]
	v_add_f64 v[18:19], v[18:19], v[56:57]
	;; [unrolled: 1-line block ×3, first 2 shown]
	v_lshlrev_b32_e32 v0, 4, v0
	ds_write_b128 v255, v[16:19]
	ds_write_b128 v255, v[20:23] offset:1088
	ds_write_b128 v255, v[4:7] offset:2176
	ds_write_b128 v0, v[28:31]
	ds_write_b128 v0, v[32:35] offset:1088
	scratch_store_dword off, v0, off        ; 4-byte Folded Spill
	ds_write_b128 v0, v[24:27] offset:2176
	v_mad_legacy_u16 v0, v88, s0, v89
	v_accvgpr_write_b32 a80, v112
	v_accvgpr_write_b32 a96, v120
	;; [unrolled: 1-line block ×3, first 2 shown]
	v_add_f64 v[36:37], v[36:37], v[72:73]
	v_lshlrev_b32_e32 v0, 4, v0
	v_accvgpr_write_b32 a81, v113
	v_accvgpr_write_b32 a82, v114
	;; [unrolled: 1-line block ×9, first 2 shown]
	ds_write_b128 v0, v[36:39]
	ds_write_b128 v0, v[144:147] offset:1088
	ds_write_b128 v0, v[104:107] offset:2176
	s_waitcnt lgkmcnt(0)
	s_barrier
	ds_read_b128 v[148:151], v96
	ds_read_b128 v[132:135], v96 offset:3264
	ds_read_b128 v[120:123], v96 offset:6528
	;; [unrolled: 1-line block ×9, first 2 shown]
	v_accvgpr_write_b32 a76, v90
	v_accvgpr_write_b32 a77, v91
	;; [unrolled: 1-line block ×5, first 2 shown]
	v_cmp_gt_u16_e64 s[0:1], 34, v244
	s_and_saveexec_b64 s[10:11], s[0:1]
	s_cbranch_execz .LBB0_9
; %bb.8:
	ds_read_b128 v[144:147], v96 offset:2720
	ds_read_b128 v[104:107], v96 offset:5984
	ds_read_b128 v[84:87], v96 offset:9248
	ds_read_b128 v[80:83], v96 offset:12512
	ds_read_b128 v[64:67], v96 offset:15776
	ds_read_b128 v[140:143], v96 offset:19040
	ds_read_b128 v[128:131], v96 offset:22304
	ds_read_b128 v[156:159], v96 offset:25568
	ds_read_b128 v[160:163], v96 offset:28832
	ds_read_b128 v[152:155], v96 offset:32096
.LBB0_9:
	s_or_b64 exec, exec, s[10:11]
	s_movk_i32 s10, 0x90
	v_mov_b64_e32 v[0:1], s[2:3]
	v_mad_u64_u32 v[4:5], s[10:11], v244, s10, v[0:1]
	global_load_dwordx4 v[6:9], v[4:5], off offset:3040
	global_load_dwordx4 v[10:13], v[4:5], off offset:3024
	;; [unrolled: 1-line block ×4, first 2 shown]
	s_mov_b32 s14, 0x4755a5e
	s_mov_b32 s17, 0xbfee6f0e
	s_mov_b32 s15, 0x3fe2cf23
	s_mov_b32 s10, 0x372fe950
	s_mov_b32 s19, 0xbfe2cf23
	s_mov_b32 s18, s14
	s_mov_b32 s11, 0x3fd3c6ef
	s_mov_b32 s20, 0x9b97f4a8
	s_mov_b32 s21, 0x3fe9e377
	s_waitcnt vmcnt(3) lgkmcnt(5)
	v_mul_f64 v[176:177], v[112:113], v[8:9]
	s_waitcnt vmcnt(2)
	v_mul_f64 v[168:169], v[116:117], v[12:13]
	s_waitcnt vmcnt(1)
	;; [unrolled: 2-line block ×3, first 2 shown]
	v_mul_f64 v[0:1], v[134:135], v[20:21]
	v_fma_f64 v[166:167], v[132:133], v[18:19], -v[0:1]
	v_mul_f64 v[0:1], v[122:123], v[16:17]
	v_fma_f64 v[178:179], v[120:121], v[14:15], -v[0:1]
	v_mul_f64 v[0:1], v[118:119], v[12:13]
	v_mul_f64 v[170:171], v[132:133], v[20:21]
	v_accvgpr_write_b32 a135, v21
	v_accvgpr_write_b32 a119, v17
	v_fma_f64 v[172:173], v[116:117], v[10:11], -v[0:1]
	v_accvgpr_write_b32 a111, v13
	v_mul_f64 v[0:1], v[114:115], v[8:9]
	v_accvgpr_write_b32 a107, v9
	v_accvgpr_write_b32 a134, v20
	;; [unrolled: 1-line block ×4, first 2 shown]
	v_fmac_f64_e32 v[170:171], v[134:135], v[18:19]
	v_accvgpr_write_b32 a118, v16
	v_accvgpr_write_b32 a117, v15
	;; [unrolled: 1-line block ×3, first 2 shown]
	v_fmac_f64_e32 v[174:175], v[122:123], v[14:15]
	v_accvgpr_write_b32 a110, v12
	v_accvgpr_write_b32 a109, v11
	;; [unrolled: 1-line block ×3, first 2 shown]
	v_fmac_f64_e32 v[168:169], v[118:119], v[10:11]
	v_fma_f64 v[180:181], v[112:113], v[6:7], -v[0:1]
	v_accvgpr_write_b32 a106, v8
	v_accvgpr_write_b32 a105, v7
	;; [unrolled: 1-line block ×3, first 2 shown]
	v_fmac_f64_e32 v[176:177], v[114:115], v[6:7]
	global_load_dwordx4 v[10:13], v[4:5], off offset:3104
	global_load_dwordx4 v[14:17], v[4:5], off offset:3088
	;; [unrolled: 1-line block ×4, first 2 shown]
	v_add_f64 v[34:35], v[178:179], -v[180:181]
	s_waitcnt vmcnt(3)
	v_accvgpr_write_b32 a123, v13
	s_waitcnt vmcnt(2) lgkmcnt(2)
	v_mul_f64 v[2:3], v[62:63], v[16:17]
	v_fma_f64 v[186:187], v[60:61], v[14:15], -v[2:3]
	s_waitcnt vmcnt(0)
	v_accvgpr_write_b32 a143, v9
	s_waitcnt lgkmcnt(1)
	v_mul_f64 v[2:3], v[50:51], v[12:13]
	v_mul_f64 v[0:1], v[138:139], v[8:9]
	;; [unrolled: 1-line block ×3, first 2 shown]
	v_accvgpr_write_b32 a142, v8
	v_accvgpr_write_b32 a141, v7
	;; [unrolled: 1-line block ×3, first 2 shown]
	v_fma_f64 v[8:9], v[48:49], v[10:11], -v[2:3]
	v_mul_f64 v[2:3], v[48:49], v[12:13]
	v_accvgpr_write_b32 a122, v12
	v_accvgpr_write_b32 a121, v11
	;; [unrolled: 1-line block ×3, first 2 shown]
	v_fmac_f64_e32 v[2:3], v[50:51], v[10:11]
	v_subrev_u32_e32 v10, 34, v244
	v_cndmask_b32_e64 v10, v10, v164, s[0:1]
	v_fma_f64 v[184:185], v[136:137], v[6:7], -v[0:1]
	v_mul_f64 v[0:1], v[70:71], v[20:21]
	v_accvgpr_write_b32 a131, v21
	v_mul_hi_i32_i24_e32 v11, 0x90, v10
	v_mul_i32_i24_e32 v10, 0x90, v10
	v_fmac_f64_e32 v[182:183], v[138:139], v[6:7]
	v_fma_f64 v[6:7], v[68:69], v[18:19], -v[0:1]
	v_mul_f64 v[0:1], v[68:69], v[20:21]
	v_accvgpr_write_b32 a130, v20
	v_accvgpr_write_b32 a129, v19
	v_accvgpr_write_b32 a128, v18
	v_mul_f64 v[68:69], v[60:61], v[16:17]
	v_accvgpr_write_b32 a127, v17
	v_lshl_add_u64 v[20:21], s[2:3], 0, v[10:11]
	v_accvgpr_write_b32 a126, v16
	v_accvgpr_write_b32 a125, v15
	;; [unrolled: 1-line block ×3, first 2 shown]
	v_fmac_f64_e32 v[68:69], v[62:63], v[14:15]
	global_load_dwordx4 v[136:139], v[4:5], off offset:3120
	global_load_dwordx4 v[120:123], v[20:21], off offset:3040
	;; [unrolled: 1-line block ×5, first 2 shown]
	v_fmac_f64_e32 v[0:1], v[70:71], v[18:19]
	s_mov_b32 s2, 0x134454ff
	s_mov_b32 s3, 0x3fee6f0e
	;; [unrolled: 1-line block ×3, first 2 shown]
	v_add_f64 v[32:33], v[176:177], -v[0:1]
	v_add_f64 v[36:37], v[8:9], -v[6:7]
	v_add_f64 v[34:35], v[34:35], v[36:37]
	v_add_f64 v[36:37], v[180:181], -v[178:179]
	v_add_f64 v[38:39], v[6:7], -v[8:9]
	v_add_f64 v[36:37], v[36:37], v[38:39]
	;; [unrolled: 3-line block ×3, first 2 shown]
	v_add_f64 v[40:41], v[176:177], -v[174:175]
	v_add_f64 v[42:43], v[172:173], -v[184:185]
	;; [unrolled: 1-line block ×3, first 2 shown]
	s_waitcnt vmcnt(3)
	v_mul_f64 v[62:63], v[64:65], v[122:123]
	s_waitcnt vmcnt(2)
	v_mul_f64 v[48:49], v[80:81], v[114:115]
	s_waitcnt lgkmcnt(0)
	v_mul_f64 v[4:5], v[46:47], v[138:139]
	s_waitcnt vmcnt(0)
	v_mul_f64 v[10:11], v[106:107], v[118:119]
	v_fma_f64 v[12:13], v[44:45], v[136:137], -v[4:5]
	v_mul_f64 v[4:5], v[44:45], v[138:139]
	v_fma_f64 v[44:45], v[104:105], v[116:117], -v[10:11]
	v_mul_f64 v[10:11], v[86:87], v[16:17]
	v_mul_f64 v[60:61], v[84:85], v[16:17]
	scratch_store_dwordx4 off, v[14:17], off offset:4 ; 16-byte Folded Spill
	v_fma_f64 v[70:71], v[84:85], v[14:15], -v[10:11]
	v_fmac_f64_e32 v[60:61], v[86:87], v[14:15]
	global_load_dwordx4 v[26:29], v[20:21], off offset:3104
	global_load_dwordx4 v[132:135], v[20:21], off offset:3088
	global_load_dwordx4 v[22:25], v[20:21], off offset:3072
	global_load_dwordx4 v[14:17], v[20:21], off offset:3056
	v_mul_f64 v[10:11], v[82:83], v[114:115]
	v_fma_f64 v[50:51], v[80:81], v[112:113], -v[10:11]
	v_mul_f64 v[10:11], v[66:67], v[122:123]
	v_fma_f64 v[80:81], v[64:65], v[120:121], -v[10:11]
	v_fmac_f64_e32 v[48:49], v[82:83], v[112:113]
	v_fmac_f64_e32 v[4:5], v[46:47], v[136:137]
	v_add_f64 v[52:53], v[12:13], -v[186:187]
	v_add_f64 v[42:43], v[42:43], v[52:53]
	v_add_f64 v[52:53], v[184:185], -v[172:173]
	v_add_f64 v[54:55], v[186:187], -v[12:13]
	v_add_f64 v[52:53], v[52:53], v[54:55]
	v_add_f64 v[54:55], v[184:185], -v[186:187]
	;; [unrolled: 3-line block ×3, first 2 shown]
	v_fmac_f64_e32 v[62:63], v[66:67], v[120:121]
	v_mul_f64 v[46:47], v[104:105], v[118:119]
	v_fmac_f64_e32 v[46:47], v[106:107], v[116:117]
	s_waitcnt vmcnt(3)
	scratch_store_dwordx4 off, v[26:29], off offset:52 ; 16-byte Folded Spill
	s_waitcnt vmcnt(3)
	v_mul_f64 v[66:67], v[156:157], v[134:135]
	s_waitcnt vmcnt(2)
	scratch_store_dwordx4 off, v[22:25], off offset:36 ; 16-byte Folded Spill
	s_waitcnt vmcnt(2)
	v_mul_f64 v[10:11], v[142:143], v[16:17]
	v_mul_f64 v[64:65], v[140:141], v[16:17]
	v_fma_f64 v[82:83], v[140:141], v[14:15], -v[10:11]
	scratch_store_dwordx4 off, v[14:17], off offset:20 ; 16-byte Folded Spill
	v_fmac_f64_e32 v[64:65], v[142:143], v[14:15]
	v_mul_f64 v[10:11], v[130:131], v[24:25]
	v_mul_f64 v[14:15], v[158:159], v[134:135]
	v_fma_f64 v[84:85], v[156:157], v[132:133], -v[14:15]
	v_mul_f64 v[14:15], v[162:163], v[28:29]
	v_fma_f64 v[18:19], v[160:161], v[26:27], -v[14:15]
	;; [unrolled: 2-line block ×3, first 2 shown]
	v_mul_f64 v[10:11], v[128:129], v[24:25]
	v_fmac_f64_e32 v[14:15], v[162:163], v[26:27]
	global_load_dwordx4 v[24:27], v[20:21], off offset:3120
	v_fmac_f64_e32 v[10:11], v[130:131], v[22:23]
	v_add_f64 v[28:29], v[174:175], -v[2:3]
	v_fmac_f64_e32 v[66:67], v[158:159], v[132:133]
	s_waitcnt vmcnt(0)
	v_mul_f64 v[20:21], v[154:155], v[26:27]
	v_accvgpr_write_b32 a139, v27
	v_fma_f64 v[22:23], v[152:153], v[24:25], -v[20:21]
	v_mul_f64 v[20:21], v[152:153], v[26:27]
	v_accvgpr_write_b32 a138, v26
	v_accvgpr_write_b32 a137, v25
	;; [unrolled: 1-line block ×3, first 2 shown]
	v_add_f64 v[26:27], v[180:181], v[6:7]
	v_fma_f64 v[26:27], -0.5, v[26:27], v[148:149]
	v_fma_f64 v[30:31], s[2:3], v[28:29], v[26:27]
	v_fmac_f64_e32 v[26:27], s[16:17], v[28:29]
	v_fmac_f64_e32 v[30:31], s[14:15], v[32:33]
	;; [unrolled: 1-line block ×4, first 2 shown]
	v_add_f64 v[24:25], v[148:149], v[178:179]
	v_fmac_f64_e32 v[30:31], s[10:11], v[34:35]
	v_fmac_f64_e32 v[26:27], s[10:11], v[34:35]
	v_add_f64 v[34:35], v[178:179], v[8:9]
	v_add_f64 v[24:25], v[24:25], v[180:181]
	v_fmac_f64_e32 v[148:149], -0.5, v[34:35]
	v_add_f64 v[24:25], v[24:25], v[6:7]
	v_fma_f64 v[34:35], s[16:17], v[32:33], v[148:149]
	v_fmac_f64_e32 v[148:149], s[2:3], v[32:33]
	v_add_f64 v[32:33], v[176:177], v[0:1]
	v_add_f64 v[24:25], v[24:25], v[8:9]
	v_fmac_f64_e32 v[34:35], s[14:15], v[28:29]
	v_fmac_f64_e32 v[148:149], s[18:19], v[28:29]
	v_fma_f64 v[32:33], -0.5, v[32:33], v[150:151]
	v_add_f64 v[8:9], v[178:179], -v[8:9]
	v_fmac_f64_e32 v[34:35], s[10:11], v[36:37]
	v_fmac_f64_e32 v[148:149], s[10:11], v[36:37]
	v_add_f64 v[28:29], v[150:151], v[174:175]
	v_fma_f64 v[36:37], s[16:17], v[8:9], v[32:33]
	v_add_f64 v[6:7], v[180:181], -v[6:7]
	v_fmac_f64_e32 v[32:33], s[2:3], v[8:9]
	v_add_f64 v[28:29], v[28:29], v[176:177]
	v_fmac_f64_e32 v[36:37], s[18:19], v[6:7]
	v_fmac_f64_e32 v[32:33], s[14:15], v[6:7]
	v_add_f64 v[28:29], v[28:29], v[0:1]
	v_fmac_f64_e32 v[36:37], s[10:11], v[38:39]
	v_fmac_f64_e32 v[32:33], s[10:11], v[38:39]
	v_add_f64 v[38:39], v[174:175], v[2:3]
	v_add_f64 v[28:29], v[28:29], v[2:3]
	v_fmac_f64_e32 v[150:151], -0.5, v[38:39]
	v_add_f64 v[0:1], v[0:1], -v[2:3]
	v_add_f64 v[2:3], v[184:185], v[186:187]
	v_fma_f64 v[38:39], s[2:3], v[6:7], v[150:151]
	v_fmac_f64_e32 v[150:151], s[16:17], v[6:7]
	v_fma_f64 v[2:3], -0.5, v[2:3], v[166:167]
	v_add_f64 v[6:7], v[168:169], -v[4:5]
	v_fmac_f64_e32 v[38:39], s[18:19], v[8:9]
	v_add_f64 v[0:1], v[40:41], v[0:1]
	v_fmac_f64_e32 v[150:151], s[14:15], v[8:9]
	v_fma_f64 v[8:9], s[2:3], v[6:7], v[2:3]
	v_add_f64 v[40:41], v[182:183], -v[68:69]
	v_fmac_f64_e32 v[2:3], s[16:17], v[6:7]
	v_fmac_f64_e32 v[8:9], s[14:15], v[40:41]
	;; [unrolled: 1-line block ×5, first 2 shown]
	v_add_f64 v[0:1], v[166:167], v[172:173]
	v_fmac_f64_e32 v[8:9], s[10:11], v[42:43]
	v_fmac_f64_e32 v[2:3], s[10:11], v[42:43]
	v_add_f64 v[42:43], v[172:173], v[12:13]
	v_add_f64 v[0:1], v[0:1], v[184:185]
	v_fmac_f64_e32 v[166:167], -0.5, v[42:43]
	v_add_f64 v[0:1], v[0:1], v[186:187]
	v_fma_f64 v[42:43], s[16:17], v[40:41], v[166:167]
	v_fmac_f64_e32 v[166:167], s[2:3], v[40:41]
	v_add_f64 v[40:41], v[182:183], v[68:69]
	v_add_f64 v[0:1], v[0:1], v[12:13]
	v_fmac_f64_e32 v[42:43], s[14:15], v[6:7]
	v_fmac_f64_e32 v[166:167], s[18:19], v[6:7]
	v_fma_f64 v[40:41], -0.5, v[40:41], v[170:171]
	v_add_f64 v[12:13], v[172:173], -v[12:13]
	v_fmac_f64_e32 v[42:43], s[10:11], v[52:53]
	v_fmac_f64_e32 v[166:167], s[10:11], v[52:53]
	v_fma_f64 v[52:53], s[16:17], v[12:13], v[40:41]
	v_fmac_f64_e32 v[40:41], s[2:3], v[12:13]
	v_add_f64 v[6:7], v[170:171], v[168:169]
	v_fmac_f64_e32 v[52:53], s[18:19], v[54:55]
	v_fmac_f64_e32 v[40:41], s[14:15], v[54:55]
	v_add_f64 v[6:7], v[6:7], v[182:183]
	v_fmac_f64_e32 v[52:53], s[10:11], v[56:57]
	v_fmac_f64_e32 v[40:41], s[10:11], v[56:57]
	v_add_f64 v[56:57], v[168:169], v[4:5]
	v_add_f64 v[6:7], v[6:7], v[68:69]
	v_fmac_f64_e32 v[170:171], -0.5, v[56:57]
	v_add_f64 v[6:7], v[6:7], v[4:5]
	v_fma_f64 v[56:57], s[2:3], v[54:55], v[170:171]
	v_add_f64 v[4:5], v[68:69], -v[4:5]
	v_fmac_f64_e32 v[170:171], s[16:17], v[54:55]
	v_fmac_f64_e32 v[56:57], s[18:19], v[12:13]
	v_add_f64 v[4:5], v[58:59], v[4:5]
	v_fmac_f64_e32 v[170:171], s[14:15], v[12:13]
	v_mul_f64 v[58:59], v[2:3], s[20:21]
	v_fmac_f64_e32 v[56:57], s[10:11], v[4:5]
	v_fmac_f64_e32 v[170:171], s[10:11], v[4:5]
	v_mul_f64 v[4:5], v[52:53], s[14:15]
	v_fma_f64 v[58:59], v[40:41], s[14:15], -v[58:59]
	v_mul_f64 v[40:41], v[40:41], s[20:21]
	v_fmac_f64_e32 v[4:5], s[20:21], v[8:9]
	v_mul_f64 v[54:55], v[166:167], s[10:11]
	v_mul_f64 v[8:9], v[8:9], s[18:19]
	v_fma_f64 v[2:3], v[2:3], s[18:19], -v[40:41]
	v_mul_f64 v[12:13], v[56:57], s[2:3]
	v_fma_f64 v[54:55], v[170:171], s[2:3], -v[54:55]
	v_fmac_f64_e32 v[8:9], s[20:21], v[52:53]
	v_mul_f64 v[52:53], v[170:171], s[10:11]
	v_add_f64 v[170:171], v[32:33], v[2:3]
	v_add_f64 v[190:191], v[32:33], -v[2:3]
	v_add_f64 v[2:3], v[80:81], v[16:17]
	v_add_f64 v[156:157], v[30:31], v[4:5]
	v_fmac_f64_e32 v[12:13], s[10:11], v[42:43]
	v_add_f64 v[176:177], v[30:31], -v[4:5]
	v_fma_f64 v[2:3], -0.5, v[2:3], v[144:145]
	v_add_f64 v[4:5], v[60:61], -v[14:15]
	v_add_f64 v[152:153], v[24:25], v[0:1]
	v_add_f64 v[160:161], v[34:35], v[12:13]
	;; [unrolled: 1-line block ×4, first 2 shown]
	v_add_f64 v[172:173], v[24:25], -v[0:1]
	v_add_f64 v[180:181], v[34:35], -v[12:13]
	v_add_f64 v[174:175], v[28:29], -v[6:7]
	v_add_f64 v[178:179], v[36:37], -v[8:9]
	v_fma_f64 v[6:7], s[2:3], v[4:5], v[2:3]
	v_add_f64 v[8:9], v[62:63], -v[10:11]
	v_add_f64 v[12:13], v[70:71], -v[80:81]
	v_add_f64 v[24:25], v[18:19], -v[16:17]
	v_fmac_f64_e32 v[2:3], s[16:17], v[4:5]
	v_fmac_f64_e32 v[6:7], s[14:15], v[8:9]
	v_add_f64 v[12:13], v[12:13], v[24:25]
	v_fmac_f64_e32 v[2:3], s[18:19], v[8:9]
	v_add_f64 v[0:1], v[144:145], v[70:71]
	v_fmac_f64_e32 v[6:7], s[10:11], v[12:13]
	v_fmac_f64_e32 v[2:3], s[10:11], v[12:13]
	v_add_f64 v[12:13], v[70:71], v[18:19]
	v_add_f64 v[0:1], v[0:1], v[80:81]
	v_fmac_f64_e32 v[144:145], -0.5, v[12:13]
	v_add_f64 v[168:169], v[26:27], v[58:59]
	v_add_f64 v[188:189], v[26:27], -v[58:59]
	v_add_f64 v[0:1], v[0:1], v[16:17]
	v_fma_f64 v[12:13], s[16:17], v[8:9], v[144:145]
	v_add_f64 v[24:25], v[80:81], -v[70:71]
	v_add_f64 v[26:27], v[16:17], -v[18:19]
	v_fmac_f64_e32 v[144:145], s[2:3], v[8:9]
	v_add_f64 v[8:9], v[62:63], v[10:11]
	v_add_f64 v[0:1], v[0:1], v[18:19]
	v_fmac_f64_e32 v[12:13], s[14:15], v[4:5]
	v_add_f64 v[24:25], v[24:25], v[26:27]
	v_fmac_f64_e32 v[144:145], s[18:19], v[4:5]
	v_fma_f64 v[8:9], -0.5, v[8:9], v[146:147]
	v_add_f64 v[18:19], v[70:71], -v[18:19]
	v_fmac_f64_e32 v[12:13], s[10:11], v[24:25]
	v_fmac_f64_e32 v[144:145], s[10:11], v[24:25]
	v_add_f64 v[4:5], v[146:147], v[60:61]
	v_fma_f64 v[24:25], s[16:17], v[18:19], v[8:9]
	v_add_f64 v[16:17], v[80:81], -v[16:17]
	v_add_f64 v[26:27], v[60:61], -v[62:63]
	;; [unrolled: 1-line block ×3, first 2 shown]
	v_fmac_f64_e32 v[8:9], s[2:3], v[18:19]
	v_add_f64 v[4:5], v[4:5], v[62:63]
	v_fmac_f64_e32 v[24:25], s[18:19], v[16:17]
	v_add_f64 v[26:27], v[26:27], v[28:29]
	v_fmac_f64_e32 v[8:9], s[14:15], v[16:17]
	v_add_f64 v[4:5], v[4:5], v[10:11]
	v_fmac_f64_e32 v[24:25], s[10:11], v[26:27]
	v_fmac_f64_e32 v[8:9], s[10:11], v[26:27]
	v_add_f64 v[26:27], v[60:61], v[14:15]
	v_add_f64 v[4:5], v[4:5], v[14:15]
	v_fmac_f64_e32 v[146:147], -0.5, v[26:27]
	v_add_f64 v[10:11], v[10:11], -v[14:15]
	v_add_f64 v[14:15], v[82:83], v[84:85]
	v_fma_f64 v[26:27], s[2:3], v[16:17], v[146:147]
	v_add_f64 v[28:29], v[62:63], -v[60:61]
	v_fmac_f64_e32 v[146:147], s[16:17], v[16:17]
	v_fma_f64 v[14:15], -0.5, v[14:15], v[44:45]
	v_add_f64 v[16:17], v[48:49], -v[20:21]
	v_fmac_f64_e32 v[26:27], s[18:19], v[18:19]
	v_add_f64 v[10:11], v[28:29], v[10:11]
	v_fmac_f64_e32 v[146:147], s[14:15], v[18:19]
	v_fma_f64 v[18:19], s[2:3], v[16:17], v[14:15]
	v_add_f64 v[28:29], v[64:65], -v[66:67]
	v_add_f64 v[30:31], v[50:51], -v[82:83]
	;; [unrolled: 1-line block ×3, first 2 shown]
	v_fmac_f64_e32 v[14:15], s[16:17], v[16:17]
	v_fmac_f64_e32 v[18:19], s[14:15], v[28:29]
	v_add_f64 v[30:31], v[30:31], v[32:33]
	v_fmac_f64_e32 v[14:15], s[18:19], v[28:29]
	v_fmac_f64_e32 v[26:27], s[10:11], v[10:11]
	;; [unrolled: 1-line block ×3, first 2 shown]
	v_add_f64 v[10:11], v[44:45], v[50:51]
	v_fmac_f64_e32 v[18:19], s[10:11], v[30:31]
	v_fmac_f64_e32 v[14:15], s[10:11], v[30:31]
	v_add_f64 v[30:31], v[50:51], v[22:23]
	v_add_f64 v[10:11], v[10:11], v[82:83]
	v_fmac_f64_e32 v[44:45], -0.5, v[30:31]
	v_mul_f64 v[42:43], v[42:43], s[16:17]
	v_add_f64 v[10:11], v[10:11], v[84:85]
	v_fma_f64 v[30:31], s[16:17], v[28:29], v[44:45]
	v_add_f64 v[32:33], v[82:83], -v[50:51]
	v_add_f64 v[34:35], v[84:85], -v[22:23]
	v_fmac_f64_e32 v[44:45], s[2:3], v[28:29]
	v_add_f64 v[28:29], v[64:65], v[66:67]
	v_fmac_f64_e32 v[42:43], s[10:11], v[56:57]
	v_add_f64 v[10:11], v[10:11], v[22:23]
	;; [unrolled: 2-line block ×3, first 2 shown]
	v_fmac_f64_e32 v[44:45], s[18:19], v[16:17]
	v_fma_f64 v[28:29], -0.5, v[28:29], v[46:47]
	v_add_f64 v[22:23], v[50:51], -v[22:23]
	v_add_f64 v[162:163], v[38:39], v[42:43]
	v_add_f64 v[182:183], v[38:39], -v[42:43]
	v_fmac_f64_e32 v[30:31], s[10:11], v[32:33]
	v_fmac_f64_e32 v[44:45], s[10:11], v[32:33]
	v_fma_f64 v[32:33], s[16:17], v[22:23], v[28:29]
	v_add_f64 v[34:35], v[82:83], -v[84:85]
	v_add_f64 v[36:37], v[48:49], -v[64:65]
	;; [unrolled: 1-line block ×3, first 2 shown]
	v_fmac_f64_e32 v[28:29], s[2:3], v[22:23]
	v_add_f64 v[16:17], v[46:47], v[48:49]
	v_fmac_f64_e32 v[32:33], s[18:19], v[34:35]
	v_add_f64 v[36:37], v[36:37], v[38:39]
	;; [unrolled: 2-line block ×3, first 2 shown]
	v_fmac_f64_e32 v[32:33], s[10:11], v[36:37]
	v_fmac_f64_e32 v[28:29], s[10:11], v[36:37]
	v_add_f64 v[36:37], v[48:49], v[20:21]
	v_add_f64 v[16:17], v[16:17], v[66:67]
	v_fmac_f64_e32 v[46:47], -0.5, v[36:37]
	v_add_f64 v[16:17], v[16:17], v[20:21]
	v_fma_f64 v[36:37], s[2:3], v[34:35], v[46:47]
	v_add_f64 v[38:39], v[64:65], -v[48:49]
	v_add_f64 v[20:21], v[66:67], -v[20:21]
	v_fmac_f64_e32 v[46:47], s[16:17], v[34:35]
	v_fmac_f64_e32 v[36:37], s[18:19], v[22:23]
	v_add_f64 v[20:21], v[38:39], v[20:21]
	v_fmac_f64_e32 v[46:47], s[14:15], v[22:23]
	v_fmac_f64_e32 v[36:37], s[10:11], v[20:21]
	;; [unrolled: 1-line block ×3, first 2 shown]
	v_mul_f64 v[20:21], v[32:33], s[14:15]
	v_fmac_f64_e32 v[20:21], s[20:21], v[18:19]
	v_mul_f64 v[22:23], v[36:37], s[2:3]
	v_mul_f64 v[38:39], v[14:15], s[20:21]
	;; [unrolled: 1-line block ×3, first 2 shown]
	v_fmac_f64_e32 v[22:23], s[10:11], v[30:31]
	v_fma_f64 v[38:39], v[28:29], s[14:15], -v[38:39]
	v_fmac_f64_e32 v[18:19], s[20:21], v[32:33]
	v_mul_f64 v[30:31], v[30:31], s[16:17]
	v_mul_f64 v[32:33], v[46:47], s[10:11]
	;; [unrolled: 1-line block ×4, first 2 shown]
	v_fmac_f64_e32 v[30:31], s[10:11], v[36:37]
	v_fma_f64 v[32:33], v[44:45], s[16:17], -v[32:33]
	v_fma_f64 v[14:15], v[14:15], s[18:19], -v[28:29]
	v_add_f64 v[192:193], v[0:1], v[10:11]
	v_add_f64 v[196:197], v[6:7], v[20:21]
	;; [unrolled: 1-line block ×3, first 2 shown]
	v_fma_f64 v[34:35], v[46:47], s[2:3], -v[34:35]
	v_add_f64 v[208:209], v[2:3], v[38:39]
	v_add_f64 v[210:211], v[8:9], v[14:15]
	v_add_f64 v[212:213], v[0:1], -v[10:11]
	v_add_f64 v[216:217], v[6:7], -v[20:21]
	;; [unrolled: 1-line block ×7, first 2 shown]
	v_fma_f64 v[52:53], v[166:167], s[16:17], -v[52:53]
	v_add_f64 v[10:11], v[144:145], -v[34:35]
	v_accvgpr_write_b32 a147, v3
	v_accvgpr_write_b32 a155, v13
	;; [unrolled: 1-line block ×3, first 2 shown]
	v_add_f64 v[164:165], v[148:149], v[54:55]
	v_add_f64 v[166:167], v[150:151], v[52:53]
	v_add_f64 v[184:185], v[148:149], -v[54:55]
	v_add_f64 v[186:187], v[150:151], -v[52:53]
	v_add_f64 v[204:205], v[144:145], v[34:35]
	v_add_f64 v[194:195], v[4:5], v[16:17]
	;; [unrolled: 1-line block ×5, first 2 shown]
	v_add_f64 v[214:215], v[4:5], -v[16:17]
	v_add_f64 v[218:219], v[24:25], -v[18:19]
	v_accvgpr_write_b32 a146, v2
	v_accvgpr_write_b32 a145, v1
	;; [unrolled: 1-line block ×9, first 2 shown]
	ds_write_b128 v96, v[152:155]
	ds_write_b128 v96, v[156:159] offset:3264
	ds_write_b128 v96, v[160:163] offset:6528
	ds_write_b128 v96, v[164:167] offset:9792
	ds_write_b128 v96, v[168:171] offset:13056
	ds_write_b128 v96, v[172:175] offset:16320
	ds_write_b128 v96, v[176:179] offset:19584
	ds_write_b128 v96, v[180:183] offset:22848
	ds_write_b128 v96, v[184:187] offset:26112
	ds_write_b128 v96, v[188:191] offset:29376
	s_and_saveexec_b64 s[2:3], s[0:1]
	s_cbranch_execz .LBB0_11
; %bb.10:
	ds_write_b128 v96, v[192:195] offset:2720
	ds_write_b128 v96, v[196:199] offset:5984
	;; [unrolled: 1-line block ×10, first 2 shown]
.LBB0_11:
	s_or_b64 exec, exec, s[2:3]
	s_waitcnt lgkmcnt(0)
	s_barrier
	s_and_saveexec_b64 s[10:11], vcc
	s_cbranch_execz .LBB0_13
; %bb.12:
	s_add_u32 s14, s8, 0x7f80
	s_addc_u32 s15, s9, 0
	global_load_dwordx4 v[4:7], v240, s[14:15]
	ds_read_b128 v[0:3], v96
	v_mov_b32_e32 v241, 0
	v_lshl_add_u64 v[44:45], s[14:15], 0, v[240:241]
	s_movk_i32 s2, 0x1000
	v_add_co_u32_e64 v12, s[2:3], s2, v44
	s_waitcnt vmcnt(0) lgkmcnt(0)
	v_mul_f64 v[8:9], v[2:3], v[6:7]
	v_mul_f64 v[10:11], v[0:1], v[6:7]
	v_fma_f64 v[8:9], v[0:1], v[4:5], -v[8:9]
	v_fmac_f64_e32 v[10:11], v[2:3], v[4:5]
	ds_write_b128 v96, v[8:11]
	ds_read_b128 v[0:3], v240 offset:1920
	global_load_dwordx4 v[4:7], v240, s[14:15] offset:1920
	v_addc_co_u32_e64 v13, s[2:3], 0, v45, s[2:3]
	s_movk_i32 s2, 0x2000
	s_waitcnt vmcnt(0) lgkmcnt(0)
	v_mul_f64 v[8:9], v[2:3], v[6:7]
	v_mul_f64 v[10:11], v[0:1], v[6:7]
	v_fma_f64 v[8:9], v[0:1], v[4:5], -v[8:9]
	v_fmac_f64_e32 v[10:11], v[2:3], v[4:5]
	ds_read_b128 v[0:3], v240 offset:3840
	global_load_dwordx4 v[4:7], v240, s[14:15] offset:3840
	ds_write_b128 v240, v[8:11] offset:1920
	s_waitcnt vmcnt(0) lgkmcnt(1)
	v_mul_f64 v[8:9], v[2:3], v[6:7]
	v_mul_f64 v[10:11], v[0:1], v[6:7]
	v_fma_f64 v[8:9], v[0:1], v[4:5], -v[8:9]
	v_fmac_f64_e32 v[10:11], v[2:3], v[4:5]
	global_load_dwordx4 v[4:7], v[12:13], off offset:1664
	ds_read_b128 v[0:3], v240 offset:5760
	ds_write_b128 v240, v[8:11] offset:3840
	s_waitcnt vmcnt(0) lgkmcnt(1)
	v_mul_f64 v[8:9], v[2:3], v[6:7]
	v_mul_f64 v[10:11], v[0:1], v[6:7]
	v_fma_f64 v[8:9], v[0:1], v[4:5], -v[8:9]
	v_fmac_f64_e32 v[10:11], v[2:3], v[4:5]
	global_load_dwordx4 v[4:7], v[12:13], off offset:3584
	ds_read_b128 v[0:3], v240 offset:7680
	v_add_co_u32_e64 v12, s[2:3], s2, v44
	ds_write_b128 v240, v[8:11] offset:5760
	s_nop 0
	v_addc_co_u32_e64 v13, s[2:3], 0, v45, s[2:3]
	s_movk_i32 s2, 0x3000
	s_waitcnt vmcnt(0) lgkmcnt(1)
	v_mul_f64 v[8:9], v[2:3], v[6:7]
	v_mul_f64 v[10:11], v[0:1], v[6:7]
	v_fma_f64 v[8:9], v[0:1], v[4:5], -v[8:9]
	v_fmac_f64_e32 v[10:11], v[2:3], v[4:5]
	global_load_dwordx4 v[4:7], v[12:13], off offset:1408
	ds_read_b128 v[0:3], v240 offset:9600
	ds_write_b128 v240, v[8:11] offset:7680
	s_waitcnt vmcnt(0) lgkmcnt(1)
	v_mul_f64 v[8:9], v[2:3], v[6:7]
	v_mul_f64 v[10:11], v[0:1], v[6:7]
	v_fma_f64 v[8:9], v[0:1], v[4:5], -v[8:9]
	v_fmac_f64_e32 v[10:11], v[2:3], v[4:5]
	global_load_dwordx4 v[4:7], v[12:13], off offset:3328
	ds_read_b128 v[0:3], v240 offset:11520
	v_add_co_u32_e64 v12, s[2:3], s2, v44
	ds_write_b128 v240, v[8:11] offset:9600
	s_nop 0
	v_addc_co_u32_e64 v13, s[2:3], 0, v45, s[2:3]
	s_movk_i32 s2, 0x4000
	;; [unrolled: 20-line block ×5, first 2 shown]
	s_waitcnt vmcnt(0) lgkmcnt(1)
	v_mul_f64 v[8:9], v[2:3], v[6:7]
	v_mul_f64 v[10:11], v[0:1], v[6:7]
	v_fma_f64 v[8:9], v[0:1], v[4:5], -v[8:9]
	v_fmac_f64_e32 v[10:11], v[2:3], v[4:5]
	global_load_dwordx4 v[4:7], v[12:13], off offset:384
	ds_read_b128 v[0:3], v240 offset:24960
	ds_write_b128 v240, v[8:11] offset:23040
	s_waitcnt vmcnt(0) lgkmcnt(1)
	v_mul_f64 v[8:9], v[2:3], v[6:7]
	v_mul_f64 v[10:11], v[0:1], v[6:7]
	v_fma_f64 v[8:9], v[0:1], v[4:5], -v[8:9]
	v_fmac_f64_e32 v[10:11], v[2:3], v[4:5]
	global_load_dwordx4 v[4:7], v[12:13], off offset:2304
	ds_read_b128 v[0:3], v240 offset:26880
	ds_write_b128 v240, v[8:11] offset:24960
	s_waitcnt vmcnt(0) lgkmcnt(1)
	v_mul_f64 v[8:9], v[2:3], v[6:7]
	v_mul_f64 v[10:11], v[0:1], v[6:7]
	v_fma_f64 v[8:9], v[0:1], v[4:5], -v[8:9]
	v_fmac_f64_e32 v[10:11], v[2:3], v[4:5]
	v_add_co_u32_e64 v4, s[2:3], s2, v44
	ds_read_b128 v[0:3], v240 offset:28800
	s_nop 0
	v_addc_co_u32_e64 v5, s[2:3], 0, v45, s[2:3]
	ds_read_b128 v[44:47], v240 offset:30720
	global_load_dwordx4 v[4:7], v[4:5], off offset:128
	ds_write_b128 v240, v[8:11] offset:26880
	s_waitcnt vmcnt(0) lgkmcnt(2)
	v_mul_f64 v[8:9], v[2:3], v[6:7]
	v_fma_f64 v[8:9], v[0:1], v[4:5], -v[8:9]
	v_mul_f64 v[10:11], v[0:1], v[6:7]
	v_or_b32_e32 v0, 0x7800, v240
	global_load_dwordx4 v[48:51], v0, s[14:15]
	v_fmac_f64_e32 v[10:11], v[2:3], v[4:5]
	ds_write_b128 v240, v[8:11] offset:28800
	s_waitcnt vmcnt(0) lgkmcnt(2)
	v_mul_f64 v[0:1], v[46:47], v[50:51]
	v_mul_f64 v[2:3], v[44:45], v[50:51]
	v_fma_f64 v[0:1], v[44:45], v[48:49], -v[0:1]
	v_fmac_f64_e32 v[2:3], v[46:47], v[48:49]
	ds_write_b128 v240, v[0:3] offset:30720
.LBB0_13:
	s_or_b64 exec, exec, s[10:11]
	s_waitcnt lgkmcnt(0)
	s_barrier
	s_and_saveexec_b64 s[2:3], vcc
	s_cbranch_execz .LBB0_15
; %bb.14:
	ds_read_b128 v[152:155], v96
	ds_read_b128 v[156:159], v96 offset:1920
	ds_read_b128 v[160:163], v96 offset:3840
	;; [unrolled: 1-line block ×16, first 2 shown]
.LBB0_15:
	s_or_b64 exec, exec, s[2:3]
	s_mov_b32 s26, 0x5d8e7cdc
	s_waitcnt lgkmcnt(0)
	v_add_f64 v[44:45], v[158:159], -v[218:219]
	s_mov_b32 s27, 0xbfd71e95
	s_mov_b32 s2, 0x370991
	v_mul_f64 v[0:1], v[44:45], s[26:27]
	v_add_f64 v[242:243], v[216:217], v[156:157]
	v_add_f64 v[48:49], v[218:219], v[158:159]
	s_mov_b32 s3, 0x3fedd6d0
	v_accvgpr_write_b32 a157, v1
	v_add_f64 v[80:81], v[156:157], -v[216:217]
	v_mul_f64 v[2:3], v[48:49], s[2:3]
	v_accvgpr_write_b32 a156, v0
	v_fma_f64 v[0:1], v[242:243], s[2:3], -v[0:1]
	s_mov_b32 s34, 0x2a9d6da3
	v_add_f64 v[4:5], v[152:153], v[0:1]
	v_fma_f64 v[0:1], s[26:27], v[80:81], v[2:3]
	s_mov_b32 s35, 0xbfe58eea
	v_add_f64 v[6:7], v[154:155], v[0:1]
	s_mov_b32 s14, 0x75d4884
	v_mul_f64 v[0:1], v[44:45], s[34:35]
	v_accvgpr_write_b32 a159, v3
	s_mov_b32 s15, 0x3fe7a5f6
	v_accvgpr_write_b32 a161, v1
	v_accvgpr_write_b32 a158, v2
	v_mul_f64 v[2:3], v[48:49], s[14:15]
	v_accvgpr_write_b32 a160, v0
	v_fma_f64 v[0:1], v[242:243], s[14:15], -v[0:1]
	s_mov_b32 s18, 0x7c9e640b
	v_add_f64 v[8:9], v[152:153], v[0:1]
	v_fma_f64 v[0:1], s[34:35], v[80:81], v[2:3]
	s_mov_b32 s19, 0xbfeca52d
	v_add_f64 v[10:11], v[154:155], v[0:1]
	s_mov_b32 s10, 0x2b2883cd
	v_mul_f64 v[0:1], v[44:45], s[18:19]
	v_accvgpr_write_b32 a163, v3
	s_mov_b32 s11, 0x3fdc86fa
	v_accvgpr_write_b32 a177, v1
	v_accvgpr_write_b32 a162, v2
	v_mul_f64 v[2:3], v[48:49], s[10:11]
	v_accvgpr_write_b32 a176, v0
	v_fma_f64 v[0:1], v[242:243], s[10:11], -v[0:1]
	s_mov_b32 s20, 0xeb564b22
	v_add_f64 v[12:13], v[152:153], v[0:1]
	v_fma_f64 v[0:1], s[18:19], v[80:81], v[2:3]
	s_mov_b32 s22, 0x3259b75e
	s_mov_b32 s21, 0xbfefdd0d
	v_add_f64 v[14:15], v[154:155], v[0:1]
	s_mov_b32 s23, 0x3fb79ee6
	v_mul_f64 v[0:1], v[44:45], s[20:21]
	v_mul_f64 v[16:17], v[48:49], s[22:23]
	v_accvgpr_write_b32 a201, v1
	v_accvgpr_write_b32 a189, v3
	;; [unrolled: 1-line block ×3, first 2 shown]
	v_fma_f64 v[0:1], v[242:243], s[22:23], -v[0:1]
	v_accvgpr_write_b32 a207, v17
	v_add_f64 v[46:47], v[162:163], -v[214:215]
	v_accvgpr_write_b32 a188, v2
	v_add_f64 v[2:3], v[152:153], v[0:1]
	v_accvgpr_write_b32 a206, v16
	v_fma_f64 v[0:1], s[20:21], v[80:81], v[16:17]
	v_mul_f64 v[16:17], v[46:47], s[34:35]
	v_add_f64 v[82:83], v[212:213], v[160:161]
	v_add_f64 v[50:51], v[214:215], v[162:163]
	v_accvgpr_write_b32 a165, v17
	v_add_f64 v[84:85], v[160:161], -v[212:213]
	v_mul_f64 v[18:19], v[50:51], s[14:15]
	v_accvgpr_write_b32 a164, v16
	v_fma_f64 v[16:17], v[82:83], s[14:15], -v[16:17]
	v_add_f64 v[4:5], v[16:17], v[4:5]
	v_fma_f64 v[16:17], s[34:35], v[84:85], v[18:19]
	v_add_f64 v[6:7], v[16:17], v[6:7]
	v_mul_f64 v[16:17], v[46:47], s[20:21]
	v_accvgpr_write_b32 a167, v19
	v_accvgpr_write_b32 a169, v17
	;; [unrolled: 1-line block ×3, first 2 shown]
	v_mul_f64 v[18:19], v[50:51], s[22:23]
	v_accvgpr_write_b32 a168, v16
	v_fma_f64 v[16:17], v[82:83], s[22:23], -v[16:17]
	s_mov_b32 s36, 0x6c9a05f6
	v_add_f64 v[8:9], v[16:17], v[8:9]
	v_fma_f64 v[16:17], s[20:21], v[84:85], v[18:19]
	s_mov_b32 s37, 0xbfe9895b
	v_add_f64 v[10:11], v[16:17], v[10:11]
	s_mov_b32 s38, 0x6ed5f1bb
	v_mul_f64 v[16:17], v[46:47], s[36:37]
	v_accvgpr_write_b32 a171, v19
	s_mov_b32 s39, 0xbfe348c8
	v_accvgpr_write_b32 a195, v17
	v_accvgpr_write_b32 a170, v18
	v_mul_f64 v[18:19], v[50:51], s[38:39]
	v_accvgpr_write_b32 a194, v16
	v_fma_f64 v[16:17], v[82:83], s[38:39], -v[16:17]
	v_add_f64 v[12:13], v[16:17], v[12:13]
	v_fma_f64 v[16:17], s[36:37], v[84:85], v[18:19]
	v_add_f64 v[62:63], v[166:167], -v[210:211]
	v_add_f64 v[14:15], v[16:17], v[14:15]
	v_mul_f64 v[16:17], v[62:63], s[18:19]
	v_accvgpr_write_b32 a211, v19
	v_add_f64 v[86:87], v[164:165], v[208:209]
	v_add_f64 v[60:61], v[166:167], v[210:211]
	v_accvgpr_write_b32 a173, v17
	v_accvgpr_write_b32 a210, v18
	v_add_f64 v[68:69], v[164:165], -v[208:209]
	v_mul_f64 v[18:19], v[60:61], s[10:11]
	v_accvgpr_write_b32 a172, v16
	v_fma_f64 v[16:17], v[86:87], s[10:11], -v[16:17]
	v_add_f64 v[4:5], v[16:17], v[4:5]
	v_fma_f64 v[16:17], s[18:19], v[68:69], v[18:19]
	v_add_f64 v[6:7], v[16:17], v[6:7]
	v_mul_f64 v[16:17], v[62:63], s[36:37]
	v_accvgpr_write_b32 a175, v19
	v_accvgpr_write_b32 a179, v17
	s_mov_b32 s30, 0xacd6c6b4
	v_accvgpr_write_b32 a174, v18
	v_mul_f64 v[18:19], v[60:61], s[38:39]
	v_accvgpr_write_b32 a178, v16
	v_fma_f64 v[16:17], v[86:87], s[38:39], -v[16:17]
	s_mov_b32 s31, 0xbfc7851a
	v_add_f64 v[8:9], v[16:17], v[8:9]
	v_fma_f64 v[16:17], s[36:37], v[68:69], v[18:19]
	s_mov_b32 s51, 0x3fc7851a
	s_mov_b32 s50, s30
	;; [unrolled: 1-line block ×3, first 2 shown]
	v_add_f64 v[10:11], v[16:17], v[10:11]
	v_mul_f64 v[16:17], v[62:63], s[50:51]
	s_mov_b32 s29, 0xbfef7484
	v_accvgpr_write_b32 a183, v19
	v_accvgpr_write_b32 a217, v17
	;; [unrolled: 1-line block ×3, first 2 shown]
	v_mul_f64 v[18:19], v[60:61], s[28:29]
	v_accvgpr_write_b32 a216, v16
	v_fma_f64 v[16:17], v[86:87], s[28:29], -v[16:17]
	v_add_f64 v[12:13], v[16:17], v[12:13]
	v_fma_f64 v[16:17], s[50:51], v[68:69], v[18:19]
	v_add_f64 v[66:67], v[170:171], -v[206:207]
	v_add_f64 v[14:15], v[16:17], v[14:15]
	v_mul_f64 v[16:17], v[66:67], s[20:21]
	v_accvgpr_write_b32 a229, v19
	v_add_f64 v[70:71], v[168:169], v[204:205]
	v_add_f64 v[64:65], v[170:171], v[206:207]
	v_accvgpr_write_b32 a181, v17
	v_accvgpr_write_b32 a228, v18
	v_add_f64 v[104:105], v[168:169], -v[204:205]
	v_mul_f64 v[18:19], v[64:65], s[22:23]
	v_accvgpr_write_b32 a180, v16
	v_fma_f64 v[16:17], v[70:71], s[22:23], -v[16:17]
	v_add_f64 v[16:17], v[16:17], v[4:5]
	v_fma_f64 v[4:5], s[20:21], v[104:105], v[18:19]
	v_add_f64 v[6:7], v[4:5], v[6:7]
	v_mul_f64 v[4:5], v[66:67], s[30:31]
	v_accvgpr_write_b32 a185, v19
	v_accvgpr_write_b32 a191, v5
	s_mov_b32 s24, 0x923c349f
	v_accvgpr_write_b32 a184, v18
	v_mul_f64 v[18:19], v[64:65], s[28:29]
	v_accvgpr_write_b32 a190, v4
	v_fma_f64 v[4:5], v[70:71], s[28:29], -v[4:5]
	s_mov_b32 s25, 0xbfeec746
	s_mov_b32 s45, 0x3feec746
	;; [unrolled: 1-line block ×3, first 2 shown]
	v_add_f64 v[8:9], v[4:5], v[8:9]
	v_fma_f64 v[4:5], s[30:31], v[104:105], v[18:19]
	s_mov_b32 s16, 0xc61f0d01
	v_add_f64 v[10:11], v[4:5], v[10:11]
	v_mul_f64 v[4:5], v[66:67], s[44:45]
	s_mov_b32 s17, 0xbfd183b1
	v_accvgpr_write_b32 a197, v19
	v_accvgpr_write_b32 a227, v5
	;; [unrolled: 1-line block ×3, first 2 shown]
	v_mul_f64 v[18:19], v[64:65], s[16:17]
	v_accvgpr_write_b32 a226, v4
	v_fma_f64 v[4:5], v[70:71], s[16:17], -v[4:5]
	v_add_f64 v[12:13], v[4:5], v[12:13]
	v_fma_f64 v[4:5], s[44:45], v[104:105], v[18:19]
	v_accvgpr_write_b32 a239, v19
	v_add_f64 v[14:15], v[4:5], v[14:15]
	v_add_f64 v[4:5], v[174:175], -v[202:203]
	v_accvgpr_write_b32 a238, v18
	v_mul_f64 v[18:19], v[4:5], s[24:25]
	v_add_f64 v[106:107], v[200:201], v[172:173]
	v_add_f64 v[250:251], v[202:203], v[174:175]
	v_accvgpr_write_b32 a187, v19
	s_mov_b32 s42, 0x4363dd80
	v_add_f64 v[140:141], v[172:173], -v[200:201]
	v_mul_f64 v[20:21], v[250:251], s[16:17]
	v_accvgpr_write_b32 a186, v18
	v_fma_f64 v[18:19], v[106:107], s[16:17], -v[18:19]
	s_mov_b32 s43, 0x3fe0d888
	v_add_f64 v[16:17], v[18:19], v[16:17]
	v_fma_f64 v[18:19], s[24:25], v[140:141], v[20:21]
	s_mov_b32 s40, 0x910ea3b9
	v_add_f64 v[6:7], v[18:19], v[6:7]
	v_mul_f64 v[18:19], v[4:5], s[42:43]
	s_mov_b32 s41, 0xbfeb34fa
	v_accvgpr_write_b32 a193, v21
	v_accvgpr_write_b32 a203, v19
	;; [unrolled: 1-line block ×3, first 2 shown]
	v_mul_f64 v[20:21], v[250:251], s[40:41]
	v_accvgpr_write_b32 a202, v18
	v_fma_f64 v[18:19], v[106:107], s[40:41], -v[18:19]
	s_mov_b32 s54, s34
	v_add_f64 v[8:9], v[18:19], v[8:9]
	v_fma_f64 v[18:19], s[42:43], v[140:141], v[20:21]
	v_accvgpr_write_b32 a209, v21
	v_add_f64 v[18:19], v[18:19], v[10:11]
	v_mul_f64 v[10:11], v[4:5], s[54:55]
	v_accvgpr_write_b32 a208, v20
	v_mul_f64 v[20:21], v[250:251], s[14:15]
	v_accvgpr_write_b32 a237, v11
	v_accvgpr_write_b32 a236, v10
	v_fma_f64 v[10:11], v[106:107], s[14:15], -v[10:11]
	v_accvgpr_write_b32 a245, v21
	v_add_f64 v[12:13], v[10:11], v[12:13]
	v_accvgpr_write_b32 a244, v20
	v_fma_f64 v[10:11], s[54:55], v[140:141], v[20:21]
	v_add_f64 v[20:21], v[178:179], -v[198:199]
	v_mul_f64 v[22:23], v[20:21], s[36:37]
	v_add_f64 v[14:15], v[10:11], v[14:15]
	v_add_f64 v[142:143], v[196:197], v[176:177]
	;; [unrolled: 1-line block ×3, first 2 shown]
	v_accvgpr_write_b32 a199, v23
	v_add_f64 v[128:129], v[176:177], -v[196:197]
	v_mul_f64 v[24:25], v[10:11], s[38:39]
	v_accvgpr_write_b32 a198, v22
	v_fma_f64 v[22:23], v[142:143], s[38:39], -v[22:23]
	v_add_f64 v[16:17], v[22:23], v[16:17]
	v_fma_f64 v[22:23], s[36:37], v[128:129], v[24:25]
	v_add_f64 v[6:7], v[22:23], v[6:7]
	v_mul_f64 v[22:23], v[20:21], s[44:45]
	v_accvgpr_write_b32 a205, v25
	v_accvgpr_write_b32 a215, v23
	;; [unrolled: 1-line block ×3, first 2 shown]
	v_mul_f64 v[24:25], v[10:11], s[16:17]
	v_accvgpr_write_b32 a214, v22
	v_fma_f64 v[22:23], v[142:143], s[16:17], -v[22:23]
	v_add_f64 v[8:9], v[22:23], v[8:9]
	v_fma_f64 v[22:23], s[44:45], v[128:129], v[24:25]
	v_add_f64 v[18:19], v[22:23], v[18:19]
	v_mul_f64 v[22:23], v[20:21], s[26:27]
	v_accvgpr_write_b32 a221, v25
	v_accvgpr_write_b32 a243, v23
	;; [unrolled: 1-line block ×3, first 2 shown]
	v_mul_f64 v[24:25], v[10:11], s[2:3]
	v_accvgpr_write_b32 a242, v22
	v_fma_f64 v[22:23], v[142:143], s[2:3], -v[22:23]
	v_add_f64 v[12:13], v[22:23], v[12:13]
	v_fma_f64 v[22:23], s[26:27], v[128:129], v[24:25]
	s_mov_b32 s53, 0xbfe0d888
	s_mov_b32 s52, s42
	v_add_f64 v[32:33], v[182:183], -v[194:195]
	v_add_f64 v[14:15], v[22:23], v[14:15]
	v_mul_f64 v[22:23], v[32:33], s[52:53]
	v_accvgpr_write_b32 a249, v25
	v_add_f64 v[146:147], v[180:181], v[192:193]
	v_add_f64 v[28:29], v[182:183], v[194:195]
	v_accvgpr_write_b32 a213, v23
	v_accvgpr_write_b32 a248, v24
	v_add_f64 v[130:131], v[180:181], -v[192:193]
	v_mul_f64 v[24:25], v[28:29], s[40:41]
	v_accvgpr_write_b32 a212, v22
	v_fma_f64 v[22:23], v[146:147], s[40:41], -v[22:23]
	v_add_f64 v[16:17], v[22:23], v[16:17]
	v_fma_f64 v[22:23], s[52:53], v[130:131], v[24:25]
	s_mov_b32 s57, 0x3feca52d
	s_mov_b32 s56, s18
	v_add_f64 v[6:7], v[22:23], v[6:7]
	v_mul_f64 v[22:23], v[32:33], s[56:57]
	v_accvgpr_write_b32 a219, v25
	v_accvgpr_write_b32 a225, v23
	;; [unrolled: 1-line block ×3, first 2 shown]
	v_mul_f64 v[24:25], v[28:29], s[10:11]
	v_accvgpr_write_b32 a224, v22
	v_fma_f64 v[22:23], v[146:147], s[10:11], -v[22:23]
	v_add_f64 v[8:9], v[22:23], v[8:9]
	v_fma_f64 v[22:23], s[56:57], v[130:131], v[24:25]
	v_add_f64 v[18:19], v[22:23], v[18:19]
	v_mul_f64 v[22:23], v[32:33], s[20:21]
	v_accvgpr_write_b32 a233, v25
	v_accvgpr_write_b32 a247, v23
	;; [unrolled: 1-line block ×3, first 2 shown]
	v_mul_f64 v[24:25], v[28:29], s[22:23]
	v_accvgpr_write_b32 a246, v22
	v_fma_f64 v[22:23], v[146:147], s[22:23], -v[22:23]
	v_add_f64 v[12:13], v[22:23], v[12:13]
	v_fma_f64 v[22:23], s[20:21], v[130:131], v[24:25]
	v_add_f64 v[42:43], v[186:187], -v[190:191]
	v_add_f64 v[14:15], v[22:23], v[14:15]
	v_mul_f64 v[22:23], v[42:43], s[30:31]
	v_accvgpr_write_b32 a253, v25
	v_add_f64 v[148:149], v[184:185], v[188:189]
	v_add_f64 v[38:39], v[186:187], v[190:191]
	v_accvgpr_write_b32 a223, v23
	v_accvgpr_write_b32 a252, v24
	v_add_f64 v[150:151], v[184:185], -v[188:189]
	v_mul_f64 v[24:25], v[38:39], s[28:29]
	v_accvgpr_write_b32 a222, v22
	v_fma_f64 v[22:23], v[148:149], s[28:29], -v[22:23]
	s_mov_b32 s47, 0x3fd71e95
	s_mov_b32 s46, s26
	v_add_f64 v[228:229], v[22:23], v[16:17]
	v_fma_f64 v[16:17], s[30:31], v[150:151], v[24:25]
	v_add_f64 v[230:231], v[16:17], v[6:7]
	v_mul_f64 v[6:7], v[42:43], s[46:47]
	v_accvgpr_write_b32 a235, v7
	v_mul_f64 v[16:17], v[38:39], s[2:3]
	v_accvgpr_write_b32 a234, v6
	v_fma_f64 v[6:7], v[148:149], s[2:3], -v[6:7]
	v_add_f64 v[220:221], v[6:7], v[8:9]
	v_fma_f64 v[6:7], s[46:47], v[150:151], v[16:17]
	v_add_f64 v[222:223], v[6:7], v[18:19]
	v_mul_f64 v[6:7], v[42:43], s[52:53]
	v_accvgpr_write_b32 a251, v7
	v_mul_f64 v[8:9], v[38:39], s[40:41]
	v_accvgpr_write_b32 a250, v6
	v_fma_f64 v[6:7], v[148:149], s[40:41], -v[6:7]
	v_add_f64 v[224:225], v[6:7], v[12:13]
	v_fma_f64 v[6:7], s[52:53], v[150:151], v[8:9]
	v_add_f64 v[226:227], v[6:7], v[14:15]
	v_mul_f64 v[6:7], v[46:47], s[30:31]
	v_accvgpr_write_b32 a103, v7
	v_accvgpr_write_b32 a102, v6
	v_fma_f64 v[6:7], v[82:83], s[28:29], -v[6:7]
	v_mul_f64 v[246:247], v[50:51], s[28:29]
	v_add_f64 v[0:1], v[154:155], v[0:1]
	v_accvgpr_write_b32 a255, v9
	v_add_f64 v[2:3], v[6:7], v[2:3]
	v_fma_f64 v[6:7], s[30:31], v[84:85], v[246:247]
	v_mul_f64 v[248:249], v[62:63], s[44:45]
	v_accvgpr_write_b32 a241, v17
	v_accvgpr_write_b32 a254, v8
	v_add_f64 v[6:7], v[6:7], v[0:1]
	v_fma_f64 v[8:9], v[86:87], s[16:17], -v[248:249]
	v_mul_f64 v[12:13], v[60:61], s[16:17]
	v_mul_f64 v[0:1], v[66:67], s[46:47]
	v_accvgpr_write_b32 a240, v16
	v_add_f64 v[8:9], v[8:9], v[2:3]
	v_fma_f64 v[2:3], s[44:45], v[68:69], v[12:13]
	v_fma_f64 v[14:15], v[70:71], s[2:3], -v[0:1]
	v_mul_f64 v[16:17], v[64:65], s[2:3]
	v_add_f64 v[6:7], v[2:3], v[6:7]
	v_add_f64 v[8:9], v[14:15], v[8:9]
	v_fma_f64 v[14:15], s[46:47], v[104:105], v[16:17]
	v_add_f64 v[14:15], v[14:15], v[6:7]
	v_mul_f64 v[6:7], v[4:5], s[18:19]
	v_fma_f64 v[18:19], v[106:107], s[10:11], -v[6:7]
	v_mul_f64 v[22:23], v[250:251], s[10:11]
	v_add_f64 v[18:19], v[18:19], v[8:9]
	v_fma_f64 v[8:9], s[18:19], v[140:141], v[22:23]
	v_accvgpr_write_b32 a231, v25
	v_add_f64 v[14:15], v[8:9], v[14:15]
	v_mul_f64 v[8:9], v[20:21], s[52:53]
	v_accvgpr_write_b32 a230, v24
	v_fma_f64 v[24:25], v[142:143], s[40:41], -v[8:9]
	v_add_f64 v[18:19], v[24:25], v[18:19]
	v_mul_f64 v[24:25], v[10:11], s[40:41]
	v_fma_f64 v[26:27], s[52:53], v[128:129], v[24:25]
	s_mov_b32 s58, s36
	v_add_f64 v[30:31], v[26:27], v[14:15]
	v_mul_f64 v[14:15], v[32:33], s[58:59]
	v_fma_f64 v[26:27], v[146:147], s[38:39], -v[14:15]
	v_add_f64 v[34:35], v[26:27], v[18:19]
	v_mul_f64 v[26:27], v[28:29], s[38:39]
	v_fma_f64 v[18:19], s[58:59], v[130:131], v[26:27]
	v_add_f64 v[36:37], v[18:19], v[30:31]
	v_mul_f64 v[18:19], v[42:43], s[54:55]
	v_fma_f64 v[30:31], v[148:149], s[14:15], -v[18:19]
	v_add_f64 v[232:233], v[30:31], v[34:35]
	v_mul_f64 v[30:31], v[38:39], s[14:15]
	v_fma_f64 v[34:35], s[54:55], v[150:151], v[30:31]
	v_add_f64 v[234:235], v[34:35], v[36:37]
	v_mul_f64 v[34:35], v[44:45], s[24:25]
	v_fma_f64 v[36:37], v[242:243], s[16:17], -v[34:35]
	v_mul_f64 v[144:145], v[46:47], s[42:43]
	v_add_f64 v[36:37], v[152:153], v[36:37]
	v_fma_f64 v[40:41], v[82:83], s[40:41], -v[144:145]
	v_mul_f64 v[52:53], v[48:49], s[16:17]
	v_add_f64 v[40:41], v[40:41], v[36:37]
	v_fma_f64 v[36:37], s[24:25], v[80:81], v[52:53]
	v_mul_f64 v[56:57], v[50:51], s[40:41]
	v_add_f64 v[36:37], v[154:155], v[36:37]
	v_fma_f64 v[54:55], s[42:43], v[84:85], v[56:57]
	v_add_f64 v[54:55], v[54:55], v[36:37]
	v_mul_f64 v[36:37], v[62:63], s[54:55]
	v_fma_f64 v[58:59], v[86:87], s[14:15], -v[36:37]
	v_mul_f64 v[72:73], v[60:61], s[14:15]
	v_add_f64 v[58:59], v[58:59], v[40:41]
	v_fma_f64 v[40:41], s[54:55], v[68:69], v[72:73]
	v_add_f64 v[54:55], v[40:41], v[54:55]
	v_mul_f64 v[40:41], v[66:67], s[18:19]
	v_fma_f64 v[74:75], v[70:71], s[10:11], -v[40:41]
	;; [unrolled: 6-line block ×3, first 2 shown]
	v_mul_f64 v[88:89], v[250:251], s[28:29]
	v_add_f64 v[78:79], v[78:79], v[58:59]
	v_fma_f64 v[58:59], s[30:31], v[140:141], v[88:89]
	s_mov_b32 s61, 0x3fefdd0d
	s_mov_b32 s60, s20
	v_add_f64 v[74:75], v[58:59], v[74:75]
	v_mul_f64 v[58:59], v[20:21], s[60:61]
	v_fma_f64 v[90:91], v[142:143], s[22:23], -v[58:59]
	v_add_f64 v[78:79], v[90:91], v[78:79]
	v_mul_f64 v[90:91], v[10:11], s[22:23]
	v_fma_f64 v[92:93], s[60:61], v[128:129], v[90:91]
	v_add_f64 v[94:95], v[92:93], v[74:75]
	v_mul_f64 v[74:75], v[32:33], s[26:27]
	v_fma_f64 v[92:93], v[146:147], s[2:3], -v[74:75]
	v_add_f64 v[236:237], v[92:93], v[78:79]
	v_mul_f64 v[92:93], v[28:29], s[2:3]
	v_fma_f64 v[78:79], s[26:27], v[130:131], v[92:93]
	;; [unrolled: 6-line block ×3, first 2 shown]
	v_add_f64 v[238:239], v[252:253], v[238:239]
	s_barrier
	s_and_saveexec_b64 s[48:49], vcc
	s_cbranch_execz .LBB0_17
; %bb.16:
	v_mul_f64 v[252:253], v[80:81], s[30:31]
	v_accvgpr_write_b32 a4, v98
	v_accvgpr_write_b32 a2, v254
	;; [unrolled: 1-line block ×3, first 2 shown]
	v_fma_f64 v[254:255], s[28:29], v[48:49], v[252:253]
	v_accvgpr_write_b32 a5, v99
	v_accvgpr_write_b32 a6, v100
	;; [unrolled: 1-line block ×3, first 2 shown]
	v_mul_f64 v[98:99], v[84:85], s[46:47]
	v_add_f64 v[254:255], v[154:155], v[254:255]
	v_fma_f64 v[100:101], s[2:3], v[50:51], v[98:99]
	v_mov_b32_e32 v241, v102
	v_accvgpr_write_b32 a1, v103
	v_mul_f64 v[102:103], v[68:69], s[52:53]
	v_add_f64 v[100:101], v[100:101], v[254:255]
	v_fma_f64 v[254:255], s[40:41], v[60:61], v[102:103]
	v_add_f64 v[100:101], v[254:255], v[100:101]
	v_mul_f64 v[254:255], v[104:105], s[54:55]
	v_accvgpr_write_b32 a8, v108
	v_accvgpr_write_b32 a9, v109
	;; [unrolled: 1-line block ×4, first 2 shown]
	v_fma_f64 v[108:109], s[14:15], v[64:65], v[254:255]
	v_add_f64 v[100:101], v[108:109], v[100:101]
	v_mul_f64 v[108:109], v[140:141], s[36:37]
	v_fma_f64 v[110:111], s[38:39], v[250:251], v[108:109]
	v_add_f64 v[100:101], v[110:111], v[100:101]
	v_mul_f64 v[110:111], v[128:129], s[56:57]
	v_accvgpr_write_b32 a48, v112
	v_accvgpr_write_b32 a49, v113
	v_accvgpr_write_b32 a50, v114
	v_accvgpr_write_b32 a51, v115
	v_fma_f64 v[112:113], s[10:11], v[10:11], v[110:111]
	v_add_f64 v[100:101], v[112:113], v[100:101]
	v_mul_f64 v[112:113], v[130:131], s[24:25]
	v_fma_f64 v[114:115], s[16:17], v[28:29], v[112:113]
	v_add_f64 v[100:101], v[114:115], v[100:101]
	v_mul_f64 v[114:115], v[44:45], s[30:31]
	v_accvgpr_write_b32 a52, v116
	v_accvgpr_write_b32 a53, v117
	;; [unrolled: 1-line block ×4, first 2 shown]
	v_fma_f64 v[116:117], v[242:243], s[28:29], -v[114:115]
	v_mul_f64 v[118:119], v[46:47], s[46:47]
	v_accvgpr_write_b32 a64, v120
	v_add_f64 v[116:117], v[152:153], v[116:117]
	v_accvgpr_write_b32 a65, v121
	v_accvgpr_write_b32 a66, v122
	;; [unrolled: 1-line block ×3, first 2 shown]
	v_fma_f64 v[120:121], v[82:83], s[2:3], -v[118:119]
	v_add_f64 v[116:117], v[120:121], v[116:117]
	v_mul_f64 v[120:121], v[62:63], s[52:53]
	v_fma_f64 v[122:123], v[86:87], s[40:41], -v[120:121]
	v_add_f64 v[116:117], v[122:123], v[116:117]
	v_mul_f64 v[122:123], v[66:67], s[54:55]
	v_accvgpr_write_b32 a12, v124
	v_accvgpr_write_b32 a13, v125
	;; [unrolled: 1-line block ×4, first 2 shown]
	v_fma_f64 v[124:125], v[70:71], s[14:15], -v[122:123]
	v_add_f64 v[116:117], v[124:125], v[116:117]
	v_mul_f64 v[124:125], v[4:5], s[36:37]
	v_fma_f64 v[126:127], v[106:107], s[38:39], -v[124:125]
	v_add_f64 v[116:117], v[126:127], v[116:117]
	v_mul_f64 v[126:127], v[20:21], s[56:57]
	v_accvgpr_write_b32 a0, v244
	v_accvgpr_write_b32 a3, v245
	v_fma_f64 v[244:245], v[142:143], s[10:11], -v[126:127]
	v_add_f64 v[116:117], v[244:245], v[116:117]
	v_mul_f64 v[244:245], v[32:33], s[24:25]
	v_accvgpr_write_b32 a68, v132
	v_accvgpr_write_b32 a69, v133
	;; [unrolled: 1-line block ×4, first 2 shown]
	v_fma_f64 v[132:133], v[146:147], s[16:17], -v[244:245]
	v_add_f64 v[116:117], v[132:133], v[116:117]
	v_mul_f64 v[132:133], v[150:151], s[60:61]
	v_fma_f64 v[134:135], s[22:23], v[38:39], v[132:133]
	v_accvgpr_write_b32 a112, v136
	v_accvgpr_write_b32 a113, v137
	;; [unrolled: 1-line block ×4, first 2 shown]
	v_add_f64 v[138:139], v[134:135], v[100:101]
	v_mul_f64 v[100:101], v[42:43], s[60:61]
	v_fma_f64 v[134:135], v[148:149], s[22:23], -v[100:101]
	v_add_f64 v[136:137], v[134:135], v[116:117]
	v_fma_f64 v[116:117], v[48:49], s[28:29], -v[252:253]
	v_fma_f64 v[98:99], v[50:51], s[2:3], -v[98:99]
	v_add_f64 v[116:117], v[154:155], v[116:117]
	v_add_f64 v[98:99], v[98:99], v[116:117]
	v_fma_f64 v[102:103], v[60:61], s[40:41], -v[102:103]
	v_add_f64 v[98:99], v[102:103], v[98:99]
	v_fma_f64 v[102:103], v[64:65], s[14:15], -v[254:255]
	;; [unrolled: 2-line block ×5, first 2 shown]
	v_fmac_f64_e32 v[114:115], s[28:29], v[242:243]
	v_add_f64 v[98:99], v[102:103], v[98:99]
	v_fmac_f64_e32 v[118:119], s[2:3], v[82:83]
	v_add_f64 v[102:103], v[152:153], v[114:115]
	v_add_f64 v[102:103], v[118:119], v[102:103]
	v_fmac_f64_e32 v[120:121], s[40:41], v[86:87]
	v_add_f64 v[102:103], v[120:121], v[102:103]
	v_fmac_f64_e32 v[122:123], s[14:15], v[70:71]
	;; [unrolled: 2-line block ×4, first 2 shown]
	v_accvgpr_write_b32 a72, v136
	v_add_f64 v[102:103], v[126:127], v[102:103]
	v_fmac_f64_e32 v[244:245], s[16:17], v[146:147]
	v_fma_f64 v[108:109], v[38:39], s[22:23], -v[132:133]
	v_accvgpr_write_b32 a73, v137
	v_accvgpr_write_b32 a74, v138
	;; [unrolled: 1-line block ×3, first 2 shown]
	v_accvgpr_read_b32 v139, a115
	v_add_f64 v[102:103], v[244:245], v[102:103]
	v_add_f64 v[110:111], v[108:109], v[98:99]
	v_fmac_f64_e32 v[100:101], s[22:23], v[148:149]
	v_mul_f64 v[98:99], v[80:81], s[52:53]
	v_accvgpr_read_b32 v138, a114
	v_accvgpr_read_b32 v137, a113
	;; [unrolled: 1-line block ×3, first 2 shown]
	v_add_f64 v[108:109], v[100:101], v[102:103]
	v_accvgpr_write_b32 a115, v111
	v_fma_f64 v[100:101], s[40:41], v[48:49], v[98:99]
	v_mul_f64 v[102:103], v[84:85], s[56:57]
	v_accvgpr_write_b32 a114, v110
	v_accvgpr_write_b32 a113, v109
	;; [unrolled: 1-line block ×3, first 2 shown]
	v_add_f64 v[100:101], v[154:155], v[100:101]
	v_fma_f64 v[108:109], s[10:11], v[50:51], v[102:103]
	v_add_f64 v[100:101], v[108:109], v[100:101]
	v_mul_f64 v[108:109], v[68:69], s[20:21]
	v_fma_f64 v[110:111], s[22:23], v[60:61], v[108:109]
	v_add_f64 v[100:101], v[110:111], v[100:101]
	v_mul_f64 v[110:111], v[104:105], s[58:59]
	v_fma_f64 v[112:113], s[38:39], v[64:65], v[110:111]
	v_add_f64 v[100:101], v[112:113], v[100:101]
	v_mul_f64 v[112:113], v[140:141], s[26:27]
	v_fma_f64 v[114:115], s[2:3], v[250:251], v[112:113]
	v_add_f64 v[100:101], v[114:115], v[100:101]
	v_mul_f64 v[114:115], v[128:129], s[30:31]
	v_fma_f64 v[116:117], s[28:29], v[10:11], v[114:115]
	v_add_f64 v[100:101], v[116:117], v[100:101]
	v_mul_f64 v[116:117], v[130:131], s[54:55]
	v_fma_f64 v[118:119], s[14:15], v[28:29], v[116:117]
	v_add_f64 v[100:101], v[118:119], v[100:101]
	v_mul_f64 v[118:119], v[44:45], s[52:53]
	v_fma_f64 v[120:121], v[242:243], s[40:41], -v[118:119]
	v_mul_f64 v[122:123], v[46:47], s[56:57]
	v_add_f64 v[120:121], v[152:153], v[120:121]
	v_fma_f64 v[124:125], v[82:83], s[10:11], -v[122:123]
	v_add_f64 v[120:121], v[124:125], v[120:121]
	v_mul_f64 v[124:125], v[62:63], s[20:21]
	v_fma_f64 v[126:127], v[86:87], s[22:23], -v[124:125]
	v_fma_f64 v[98:99], v[48:49], s[40:41], -v[98:99]
	v_add_f64 v[120:121], v[126:127], v[120:121]
	v_mul_f64 v[126:127], v[66:67], s[58:59]
	v_fma_f64 v[102:103], v[50:51], s[10:11], -v[102:103]
	v_add_f64 v[98:99], v[154:155], v[98:99]
	v_fma_f64 v[132:133], v[70:71], s[38:39], -v[126:127]
	v_add_f64 v[98:99], v[102:103], v[98:99]
	v_fma_f64 v[102:103], v[60:61], s[22:23], -v[108:109]
	v_add_f64 v[120:121], v[132:133], v[120:121]
	v_mul_f64 v[132:133], v[4:5], s[26:27]
	v_add_f64 v[98:99], v[102:103], v[98:99]
	v_fma_f64 v[102:103], v[64:65], s[38:39], -v[110:111]
	v_fma_f64 v[134:135], v[106:107], s[2:3], -v[132:133]
	v_add_f64 v[98:99], v[102:103], v[98:99]
	v_fma_f64 v[102:103], v[250:251], s[2:3], -v[112:113]
	v_add_f64 v[120:121], v[134:135], v[120:121]
	v_mul_f64 v[134:135], v[20:21], s[30:31]
	v_add_f64 v[98:99], v[102:103], v[98:99]
	v_fma_f64 v[102:103], v[10:11], s[28:29], -v[114:115]
	v_fma_f64 v[244:245], v[142:143], s[28:29], -v[134:135]
	v_add_f64 v[98:99], v[102:103], v[98:99]
	v_fma_f64 v[102:103], v[28:29], s[14:15], -v[116:117]
	v_fmac_f64_e32 v[118:119], s[40:41], v[242:243]
	v_add_f64 v[120:121], v[244:245], v[120:121]
	v_mul_f64 v[244:245], v[32:33], s[54:55]
	v_add_f64 v[98:99], v[102:103], v[98:99]
	v_fmac_f64_e32 v[122:123], s[10:11], v[82:83]
	v_add_f64 v[102:103], v[152:153], v[118:119]
	v_fma_f64 v[252:253], v[146:147], s[14:15], -v[244:245]
	v_add_f64 v[102:103], v[122:123], v[102:103]
	v_fmac_f64_e32 v[124:125], s[22:23], v[86:87]
	v_add_f64 v[120:121], v[252:253], v[120:121]
	v_mul_f64 v[252:253], v[150:151], s[24:25]
	v_add_f64 v[102:103], v[124:125], v[102:103]
	v_fmac_f64_e32 v[126:127], s[38:39], v[70:71]
	v_fma_f64 v[254:255], s[16:17], v[38:39], v[252:253]
	v_add_f64 v[102:103], v[126:127], v[102:103]
	v_fmac_f64_e32 v[132:133], s[2:3], v[106:107]
	v_add_f64 v[2:3], v[254:255], v[100:101]
	v_mul_f64 v[100:101], v[42:43], s[24:25]
	v_add_f64 v[102:103], v[132:133], v[102:103]
	v_fmac_f64_e32 v[134:135], s[28:29], v[142:143]
	v_fma_f64 v[254:255], v[148:149], s[16:17], -v[100:101]
	v_accvgpr_write_b32 a89, v1
	v_add_f64 v[102:103], v[134:135], v[102:103]
	v_fmac_f64_e32 v[244:245], s[14:15], v[146:147]
	v_fma_f64 v[108:109], v[38:39], s[16:17], -v[252:253]
	v_accvgpr_write_b32 a88, v0
	v_add_f64 v[0:1], v[254:255], v[120:121]
	v_add_f64 v[102:103], v[244:245], v[102:103]
	;; [unrolled: 1-line block ×3, first 2 shown]
	v_fmac_f64_e32 v[100:101], s[16:17], v[148:149]
	v_mul_f64 v[98:99], v[80:81], s[36:37]
	v_add_f64 v[252:253], v[100:101], v[102:103]
	v_fma_f64 v[100:101], s[38:39], v[48:49], v[98:99]
	v_mul_f64 v[102:103], v[84:85], s[44:45]
	v_add_f64 v[100:101], v[154:155], v[100:101]
	v_fma_f64 v[108:109], s[16:17], v[50:51], v[102:103]
	v_add_f64 v[100:101], v[108:109], v[100:101]
	v_mul_f64 v[108:109], v[68:69], s[26:27]
	v_fma_f64 v[110:111], s[2:3], v[60:61], v[108:109]
	v_add_f64 v[100:101], v[110:111], v[100:101]
	v_mul_f64 v[110:111], v[104:105], s[52:53]
	;; [unrolled: 3-line block ×5, first 2 shown]
	v_fma_f64 v[118:119], s[28:29], v[28:29], v[116:117]
	v_mul_f64 v[120:121], v[44:45], s[36:37]
	v_add_f64 v[100:101], v[118:119], v[100:101]
	v_mul_f64 v[118:119], v[46:47], s[44:45]
	v_fma_f64 v[44:45], v[242:243], s[38:39], -v[120:121]
	v_add_f64 v[44:45], v[152:153], v[44:45]
	v_fma_f64 v[46:47], v[82:83], s[16:17], -v[118:119]
	v_mul_f64 v[62:63], v[62:63], s[26:27]
	v_add_f64 v[44:45], v[46:47], v[44:45]
	v_fma_f64 v[46:47], v[86:87], s[2:3], -v[62:63]
	v_mul_f64 v[66:67], v[66:67], s[52:53]
	;; [unrolled: 3-line block ×5, first 2 shown]
	v_fma_f64 v[48:49], v[48:49], s[38:39], -v[98:99]
	v_add_f64 v[44:45], v[46:47], v[44:45]
	v_fma_f64 v[46:47], v[146:147], s[28:29], -v[32:33]
	v_mul_f64 v[122:123], v[150:151], s[56:57]
	v_fma_f64 v[50:51], v[50:51], s[16:17], -v[102:103]
	v_add_f64 v[48:49], v[154:155], v[48:49]
	v_add_f64 v[44:45], v[46:47], v[44:45]
	v_fma_f64 v[46:47], s[10:11], v[38:39], v[122:123]
	v_mul_f64 v[42:43], v[42:43], s[56:57]
	v_fma_f64 v[60:61], v[60:61], s[2:3], -v[108:109]
	v_add_f64 v[48:49], v[50:51], v[48:49]
	v_add_f64 v[46:47], v[46:47], v[100:101]
	v_fma_f64 v[100:101], v[148:149], s[10:11], -v[42:43]
	v_fma_f64 v[64:65], v[64:65], s[40:41], -v[110:111]
	v_add_f64 v[48:49], v[60:61], v[48:49]
	v_add_f64 v[44:45], v[100:101], v[44:45]
	v_fma_f64 v[100:101], v[250:251], s[22:23], -v[112:113]
	v_add_f64 v[48:49], v[64:65], v[48:49]
	v_fma_f64 v[10:11], v[10:11], s[14:15], -v[114:115]
	;; [unrolled: 2-line block ×3, first 2 shown]
	v_add_f64 v[10:11], v[10:11], v[48:49]
	v_fmac_f64_e32 v[120:121], s[38:39], v[242:243]
	v_add_f64 v[10:11], v[28:29], v[10:11]
	v_fmac_f64_e32 v[118:119], s[16:17], v[82:83]
	v_add_f64 v[28:29], v[152:153], v[120:121]
	v_add_f64 v[28:29], v[118:119], v[28:29]
	v_fmac_f64_e32 v[62:63], s[2:3], v[86:87]
	v_add_f64 v[28:29], v[62:63], v[28:29]
	v_fmac_f64_e32 v[66:67], s[40:41], v[70:71]
	;; [unrolled: 2-line block ×6, first 2 shown]
	v_add_f64 v[48:49], v[42:43], v[4:5]
	v_mul_f64 v[42:43], v[84:85], s[42:43]
	v_add_f64 v[42:43], v[56:57], -v[42:43]
	v_mul_f64 v[56:57], v[80:81], s[24:25]
	v_fma_f64 v[38:39], v[38:39], s[10:11], -v[122:123]
	v_add_f64 v[52:53], v[52:53], -v[56:57]
	v_add_f64 v[50:51], v[38:39], v[10:11]
	v_mul_f64 v[38:39], v[68:69], s[54:55]
	v_add_f64 v[52:53], v[154:155], v[52:53]
	v_add_f64 v[38:39], v[72:73], -v[38:39]
	v_add_f64 v[42:43], v[42:43], v[52:53]
	v_add_f64 v[38:39], v[38:39], v[42:43]
	v_mul_f64 v[42:43], v[70:71], s[10:11]
	v_add_f64 v[40:41], v[42:43], v[40:41]
	v_mul_f64 v[42:43], v[86:87], s[14:15]
	v_mul_f64 v[52:53], v[242:243], s[16:17]
	v_add_f64 v[36:37], v[42:43], v[36:37]
	v_mul_f64 v[42:43], v[82:83], s[40:41]
	v_add_f64 v[34:35], v[52:53], v[34:35]
	;; [unrolled: 2-line block ×3, first 2 shown]
	v_add_f64 v[34:35], v[152:153], v[34:35]
	v_mul_f64 v[28:29], v[140:141], s[30:31]
	v_add_f64 v[32:33], v[76:77], -v[32:33]
	v_add_f64 v[34:35], v[42:43], v[34:35]
	v_mul_f64 v[20:21], v[128:129], s[60:61]
	v_add_f64 v[28:29], v[88:89], -v[28:29]
	v_add_f64 v[32:33], v[32:33], v[38:39]
	v_mul_f64 v[38:39], v[106:107], s[28:29]
	v_add_f64 v[34:35], v[36:37], v[34:35]
	v_mul_f64 v[10:11], v[130:131], s[26:27]
	v_add_f64 v[20:21], v[90:91], -v[20:21]
	v_add_f64 v[28:29], v[28:29], v[32:33]
	v_mul_f64 v[32:33], v[142:143], s[22:23]
	v_add_f64 v[38:39], v[38:39], v[54:55]
	v_add_f64 v[34:35], v[40:41], v[34:35]
	v_add_f64 v[10:11], v[92:93], -v[10:11]
	v_add_f64 v[20:21], v[20:21], v[28:29]
	v_mul_f64 v[28:29], v[146:147], s[2:3]
	v_add_f64 v[32:33], v[32:33], v[58:59]
	v_add_f64 v[34:35], v[38:39], v[34:35]
	;; [unrolled: 1-line block ×3, first 2 shown]
	v_mul_f64 v[20:21], v[148:149], s[38:39]
	v_add_f64 v[28:29], v[28:29], v[74:75]
	v_add_f64 v[32:33], v[32:33], v[34:35]
	v_add_f64 v[20:21], v[20:21], v[78:79]
	v_add_f64 v[28:29], v[28:29], v[32:33]
	v_mul_f64 v[4:5], v[150:151], s[36:37]
	v_add_f64 v[60:61], v[20:21], v[28:29]
	v_mul_f64 v[20:21], v[128:129], s[52:53]
	v_add_f64 v[4:5], v[94:95], -v[4:5]
	v_add_f64 v[20:21], v[24:25], -v[20:21]
	v_mul_f64 v[24:25], v[140:141], s[18:19]
	v_add_f64 v[62:63], v[4:5], v[10:11]
	v_mul_f64 v[10:11], v[130:131], s[58:59]
	v_add_f64 v[22:23], v[22:23], -v[24:25]
	v_mul_f64 v[24:25], v[104:105], s[46:47]
	v_accvgpr_read_b32 v28, a206
	v_add_f64 v[10:11], v[26:27], -v[10:11]
	v_add_f64 v[16:17], v[16:17], -v[24:25]
	v_mul_f64 v[24:25], v[68:69], s[44:45]
	v_mul_f64 v[26:27], v[80:81], s[20:21]
	v_accvgpr_read_b32 v29, a207
	v_add_f64 v[12:13], v[12:13], -v[24:25]
	v_mul_f64 v[24:25], v[84:85], s[30:31]
	v_add_f64 v[26:27], v[28:29], -v[26:27]
	v_add_f64 v[24:25], v[246:247], -v[24:25]
	v_add_f64 v[26:27], v[154:155], v[26:27]
	v_add_f64 v[24:25], v[24:25], v[26:27]
	;; [unrolled: 1-line block ×4, first 2 shown]
	v_mul_f64 v[16:17], v[146:147], s[38:39]
	v_accvgpr_write_b32 a87, v3
	v_add_f64 v[12:13], v[22:23], v[12:13]
	v_add_f64 v[14:15], v[16:17], v[14:15]
	v_mul_f64 v[16:17], v[142:143], s[40:41]
	v_accvgpr_write_b32 a86, v2
	v_accvgpr_write_b32 a85, v1
	;; [unrolled: 1-line block ×3, first 2 shown]
	v_add_f64 v[12:13], v[20:21], v[12:13]
	v_add_f64 v[8:9], v[16:17], v[8:9]
	v_mul_f64 v[16:17], v[106:107], s[10:11]
	v_accvgpr_read_b32 v0, a88
	v_add_f64 v[10:11], v[10:11], v[12:13]
	v_mul_f64 v[12:13], v[148:149], s[14:15]
	v_add_f64 v[6:7], v[16:17], v[6:7]
	v_mul_f64 v[16:17], v[70:71], s[2:3]
	v_accvgpr_read_b32 v1, a89
	v_add_f64 v[12:13], v[12:13], v[18:19]
	v_add_f64 v[2:3], v[16:17], v[0:1]
	v_mul_f64 v[16:17], v[86:87], s[16:17]
	v_accvgpr_read_b32 v18, a102
	v_add_f64 v[0:1], v[16:17], v[248:249]
	v_mul_f64 v[16:17], v[82:83], s[28:29]
	v_accvgpr_read_b32 v19, a103
	v_accvgpr_read_b32 v20, a200
	v_add_f64 v[16:17], v[16:17], v[18:19]
	v_mul_f64 v[18:19], v[242:243], s[22:23]
	v_accvgpr_read_b32 v21, a201
	v_add_f64 v[18:19], v[18:19], v[20:21]
	v_add_f64 v[18:19], v[152:153], v[18:19]
	;; [unrolled: 1-line block ×6, first 2 shown]
	v_mul_f64 v[4:5], v[150:151], s[54:55]
	v_add_f64 v[0:1], v[8:9], v[0:1]
	v_add_f64 v[4:5], v[30:31], -v[4:5]
	v_add_f64 v[0:1], v[14:15], v[0:1]
	v_accvgpr_read_b32 v2, a254
	v_add_f64 v[66:67], v[4:5], v[10:11]
	v_add_f64 v[64:65], v[12:13], v[0:1]
	v_mul_f64 v[0:1], v[150:151], s[52:53]
	v_accvgpr_read_b32 v3, a255
	v_accvgpr_read_b32 v4, a252
	v_add_f64 v[0:1], v[2:3], -v[0:1]
	v_mul_f64 v[2:3], v[130:131], s[20:21]
	v_accvgpr_read_b32 v5, a253
	v_accvgpr_read_b32 v6, a248
	v_add_f64 v[2:3], v[4:5], -v[2:3]
	;; [unrolled: 4-line block ×7, first 2 shown]
	v_mul_f64 v[14:15], v[80:81], s[18:19]
	v_accvgpr_read_b32 v17, a189
	v_add_f64 v[14:15], v[16:17], -v[14:15]
	v_add_f64 v[14:15], v[154:155], v[14:15]
	v_add_f64 v[12:13], v[12:13], v[14:15]
	;; [unrolled: 1-line block ×5, first 2 shown]
	v_mul_f64 v[8:9], v[84:85], s[34:35]
	v_add_f64 v[4:5], v[4:5], v[6:7]
	v_mul_f64 v[6:7], v[84:85], s[20:21]
	v_accvgpr_read_b32 v84, a232
	v_mul_f64 v[74:75], v[130:131], s[56:57]
	v_accvgpr_read_b32 v85, a233
	v_add_f64 v[74:75], v[84:85], -v[74:75]
	v_accvgpr_read_b32 v84, a220
	v_accvgpr_read_b32 v38, a194
	v_mul_f64 v[72:73], v[128:129], s[44:45]
	v_accvgpr_read_b32 v85, a221
	v_mul_f64 v[24:25], v[82:83], s[38:39]
	v_accvgpr_read_b32 v39, a195
	v_add_f64 v[72:73], v[84:85], -v[72:73]
	v_accvgpr_read_b32 v84, a208
	v_add_f64 v[24:25], v[24:25], v[38:39]
	v_mul_f64 v[38:39], v[68:69], s[18:19]
	v_mul_f64 v[42:43], v[68:69], s[36:37]
	;; [unrolled: 1-line block ×3, first 2 shown]
	v_accvgpr_read_b32 v85, a209
	v_add_f64 v[68:69], v[84:85], -v[68:69]
	v_accvgpr_read_b32 v84, a196
	v_mul_f64 v[56:57], v[104:105], s[30:31]
	v_accvgpr_read_b32 v85, a197
	v_add_f64 v[56:57], v[84:85], -v[56:57]
	v_accvgpr_read_b32 v84, a182
	v_accvgpr_read_b32 v85, a183
	v_add_f64 v[42:43], v[84:85], -v[42:43]
	v_accvgpr_read_b32 v84, a170
	;; [unrolled: 3-line block ×3, first 2 shown]
	v_mul_f64 v[18:19], v[80:81], s[34:35]
	v_accvgpr_read_b32 v85, a163
	v_add_f64 v[18:19], v[84:85], -v[18:19]
	v_add_f64 v[18:19], v[154:155], v[18:19]
	v_add_f64 v[6:7], v[6:7], v[18:19]
	v_accvgpr_read_b32 v26, a250
	v_add_f64 v[6:7], v[42:43], v[6:7]
	v_add_f64 v[2:3], v[2:3], v[4:5]
	v_mul_f64 v[4:5], v[148:149], s[40:41]
	v_accvgpr_read_b32 v27, a251
	v_accvgpr_read_b32 v28, a246
	v_add_f64 v[6:7], v[56:57], v[6:7]
	v_accvgpr_read_b32 v56, a202
	v_add_f64 v[4:5], v[4:5], v[26:27]
	v_mul_f64 v[26:27], v[146:147], s[22:23]
	v_accvgpr_read_b32 v29, a247
	v_accvgpr_read_b32 v30, a242
	v_mul_f64 v[58:59], v[106:107], s[40:41]
	v_accvgpr_read_b32 v57, a203
	v_add_f64 v[26:27], v[26:27], v[28:29]
	v_mul_f64 v[28:29], v[142:143], s[2:3]
	v_accvgpr_read_b32 v31, a243
	v_accvgpr_read_b32 v32, a236
	;; [unrolled: 1-line block ×3, first 2 shown]
	v_add_f64 v[56:57], v[58:59], v[56:57]
	v_accvgpr_read_b32 v58, a190
	v_mul_f64 v[20:21], v[242:243], s[10:11]
	v_add_f64 v[28:29], v[28:29], v[30:31]
	v_mul_f64 v[30:31], v[106:107], s[14:15]
	v_accvgpr_read_b32 v33, a237
	v_accvgpr_read_b32 v34, a226
	;; [unrolled: 1-line block ×3, first 2 shown]
	v_mul_f64 v[54:55], v[70:71], s[28:29]
	v_accvgpr_read_b32 v59, a191
	v_add_f64 v[30:31], v[30:31], v[32:33]
	v_mul_f64 v[32:33], v[70:71], s[16:17]
	v_accvgpr_read_b32 v35, a227
	v_accvgpr_read_b32 v36, a216
	v_add_f64 v[20:21], v[20:21], v[52:53]
	v_add_f64 v[54:55], v[54:55], v[58:59]
	v_accvgpr_read_b32 v58, a178
	v_add_f64 v[32:33], v[32:33], v[34:35]
	v_mul_f64 v[34:35], v[86:87], s[28:29]
	v_accvgpr_read_b32 v37, a217
	v_mul_f64 v[40:41], v[86:87], s[38:39]
	v_add_f64 v[20:21], v[152:153], v[20:21]
	v_accvgpr_read_b32 v59, a179
	v_add_f64 v[34:35], v[34:35], v[36:37]
	v_add_f64 v[20:21], v[24:25], v[20:21]
	;; [unrolled: 1-line block ×3, first 2 shown]
	v_accvgpr_read_b32 v58, a168
	v_mul_f64 v[10:11], v[82:83], s[22:23]
	v_add_f64 v[20:21], v[34:35], v[20:21]
	v_accvgpr_read_b32 v59, a169
	v_add_f64 v[20:21], v[32:33], v[20:21]
	v_add_f64 v[10:11], v[10:11], v[58:59]
	v_accvgpr_read_b32 v58, a160
	v_mul_f64 v[12:13], v[242:243], s[14:15]
	v_add_f64 v[20:21], v[30:31], v[20:21]
	v_accvgpr_read_b32 v59, a161
	v_add_f64 v[20:21], v[28:29], v[20:21]
	v_add_f64 v[12:13], v[12:13], v[58:59]
	;; [unrolled: 1-line block ×3, first 2 shown]
	v_accvgpr_read_b32 v42, a224
	v_add_f64 v[12:13], v[152:153], v[12:13]
	v_add_f64 v[2:3], v[0:1], v[2:3]
	;; [unrolled: 1-line block ×3, first 2 shown]
	v_mul_f64 v[4:5], v[146:147], s[10:11]
	v_accvgpr_read_b32 v43, a225
	v_add_f64 v[10:11], v[10:11], v[12:13]
	v_add_f64 v[4:5], v[4:5], v[42:43]
	v_accvgpr_read_b32 v42, a214
	v_add_f64 v[10:11], v[40:41], v[10:11]
	v_mul_f64 v[52:53], v[70:71], s[22:23]
	v_mul_f64 v[70:71], v[142:143], s[16:17]
	v_accvgpr_read_b32 v43, a215
	v_add_f64 v[10:11], v[54:55], v[10:11]
	v_accvgpr_read_b32 v12, a218
	v_mul_f64 v[20:21], v[130:131], s[52:53]
	v_accvgpr_read_b32 v18, a234
	v_add_f64 v[42:43], v[70:71], v[42:43]
	v_add_f64 v[10:11], v[56:57], v[10:11]
	v_accvgpr_read_b32 v13, a219
	v_mul_f64 v[22:23], v[82:83], s[14:15]
	v_mul_f64 v[82:83], v[148:149], s[2:3]
	v_accvgpr_read_b32 v19, a235
	v_add_f64 v[10:11], v[42:43], v[10:11]
	v_add_f64 v[12:13], v[12:13], -v[20:21]
	v_accvgpr_read_b32 v20, a192
	v_mul_f64 v[32:33], v[140:141], s[24:25]
	v_add_f64 v[18:19], v[82:83], v[18:19]
	v_add_f64 v[4:5], v[4:5], v[10:11]
	v_accvgpr_read_b32 v21, a193
	v_add_f64 v[4:5], v[18:19], v[4:5]
	v_accvgpr_read_b32 v18, a204
	v_add_f64 v[20:21], v[20:21], -v[32:33]
	v_accvgpr_read_b32 v32, a166
	v_mul_f64 v[28:29], v[128:129], s[36:37]
	v_accvgpr_read_b32 v19, a205
	v_accvgpr_read_b32 v33, a167
	v_add_f64 v[18:19], v[18:19], -v[28:29]
	v_accvgpr_read_b32 v28, a184
	v_add_f64 v[8:9], v[32:33], -v[8:9]
	v_accvgpr_read_b32 v32, a158
	v_mul_f64 v[14:15], v[80:81], s[26:27]
	v_mul_f64 v[24:25], v[104:105], s[20:21]
	v_accvgpr_read_b32 v29, a185
	v_accvgpr_read_b32 v33, a159
	v_add_f64 v[24:25], v[28:29], -v[24:25]
	v_accvgpr_read_b32 v28, a174
	v_add_f64 v[14:15], v[32:33], -v[14:15]
	v_accvgpr_read_b32 v29, a175
	v_add_f64 v[14:15], v[154:155], v[14:15]
	v_add_f64 v[28:29], v[28:29], -v[38:39]
	v_add_f64 v[8:9], v[8:9], v[14:15]
	v_add_f64 v[8:9], v[28:29], v[8:9]
	v_add_f64 v[8:9], v[24:25], v[8:9]
	v_add_f64 v[8:9], v[20:21], v[8:9]
	v_add_f64 v[8:9], v[18:19], v[8:9]
	v_add_f64 v[8:9], v[12:13], v[8:9]
	v_accvgpr_read_b32 v12, a212
	v_mul_f64 v[26:27], v[146:147], s[40:41]
	v_accvgpr_read_b32 v13, a213
	v_add_f64 v[12:13], v[26:27], v[12:13]
	v_accvgpr_read_b32 v26, a164
	v_accvgpr_read_b32 v27, a165
	v_add_f64 v[22:23], v[22:23], v[26:27]
	v_accvgpr_read_b32 v26, a156
	v_mul_f64 v[16:17], v[242:243], s[2:3]
	v_accvgpr_read_b32 v27, a157
	v_accvgpr_read_b32 v24, a172
	v_add_f64 v[16:17], v[16:17], v[26:27]
	v_mul_f64 v[36:37], v[86:87], s[10:11]
	v_accvgpr_read_b32 v20, a180
	v_accvgpr_read_b32 v25, a173
	v_add_f64 v[16:17], v[152:153], v[16:17]
	v_accvgpr_read_b32 v10, a230
	v_accvgpr_read_b32 v18, a186
	;; [unrolled: 1-line block ×3, first 2 shown]
	v_add_f64 v[24:25], v[36:37], v[24:25]
	v_add_f64 v[16:17], v[22:23], v[16:17]
	v_mul_f64 v[34:35], v[106:107], s[16:17]
	v_mul_f64 v[80:81], v[150:151], s[30:31]
	v_accvgpr_read_b32 v11, a231
	v_accvgpr_read_b32 v14, a198
	;; [unrolled: 1-line block ×3, first 2 shown]
	v_add_f64 v[20:21], v[52:53], v[20:21]
	v_add_f64 v[16:17], v[24:25], v[16:17]
	v_mul_f64 v[30:31], v[142:143], s[38:39]
	v_accvgpr_read_b32 v78, a240
	v_add_f64 v[10:11], v[10:11], -v[80:81]
	v_accvgpr_read_b32 v15, a199
	v_add_f64 v[18:19], v[34:35], v[18:19]
	v_add_f64 v[16:17], v[20:21], v[16:17]
	v_mul_f64 v[76:77], v[150:151], s[46:47]
	v_accvgpr_read_b32 v79, a241
	v_add_f64 v[10:11], v[10:11], v[8:9]
	v_accvgpr_read_b32 v8, a222
	v_add_f64 v[14:15], v[30:31], v[14:15]
	v_add_f64 v[16:17], v[18:19], v[16:17]
	v_add_f64 v[76:77], v[78:79], -v[76:77]
	v_mul_f64 v[78:79], v[148:149], s[28:29]
	v_accvgpr_read_b32 v9, a223
	v_add_f64 v[14:15], v[14:15], v[16:17]
	v_add_f64 v[8:9], v[78:79], v[8:9]
	;; [unrolled: 1-line block ×33, first 2 shown]
	v_accvgpr_read_b32 v244, a0
	v_add_f64 v[6:7], v[68:69], v[6:7]
	v_add_f64 v[12:13], v[208:209], v[12:13]
	;; [unrolled: 1-line block ×4, first 2 shown]
	v_mul_lo_u16_e32 v16, 17, v244
	v_accvgpr_read_b32 v127, a15
	v_accvgpr_read_b32 v135, a71
	;; [unrolled: 1-line block ×7, first 2 shown]
	v_add_f64 v[6:7], v[74:75], v[6:7]
	v_add_f64 v[12:13], v[216:217], v[12:13]
	v_lshlrev_b32_e32 v16, 4, v16
	v_accvgpr_read_b32 v126, a14
	v_accvgpr_read_b32 v125, a13
	v_accvgpr_read_b32 v124, a12
	v_accvgpr_read_b32 v134, a70
	v_accvgpr_read_b32 v133, a69
	v_accvgpr_read_b32 v132, a68
	v_accvgpr_read_b32 v245, a3
	v_accvgpr_read_b32 v114, a50
	v_accvgpr_read_b32 v113, a49
	v_accvgpr_read_b32 v112, a48
	v_accvgpr_read_b32 v110, a10
	v_accvgpr_read_b32 v109, a9
	v_accvgpr_read_b32 v108, a8
	v_accvgpr_read_b32 v103, a1
	v_mov_b32_e32 v102, v241
	v_accvgpr_read_b32 v100, a6
	v_accvgpr_read_b32 v99, a5
	v_accvgpr_read_b32 v98, a4
	v_accvgpr_read_b32 v122, a66
	v_accvgpr_read_b32 v121, a65
	v_accvgpr_read_b32 v120, a64
	v_accvgpr_read_b32 v118, a54
	v_accvgpr_read_b32 v117, a53
	v_accvgpr_read_b32 v116, a52
	v_add_f64 v[6:7], v[76:77], v[6:7]
	ds_write_b128 v16, v[12:15]
	ds_write_b128 v16, v[8:11] offset:16
	ds_write_b128 v16, v[4:7] offset:32
	;; [unrolled: 1-line block ×7, first 2 shown]
	v_accvgpr_read_b32 v255, a100
	v_accvgpr_read_b32 v254, a2
	ds_write_b128 v16, a[112:115] offset:128
	ds_write_b128 v16, a[72:75] offset:144
	;; [unrolled: 1-line block ×9, first 2 shown]
.LBB0_17:
	s_or_b64 exec, exec, s[48:49]
	s_waitcnt lgkmcnt(0)
	s_barrier
	ds_read_b128 v[0:3], v96
	ds_read_b128 v[4:7], v96 offset:2720
	ds_read_b128 v[8:11], v96 offset:16320
	;; [unrolled: 1-line block ×11, first 2 shown]
	s_waitcnt lgkmcnt(7)
	v_mul_f64 v[48:49], v[110:111], v[18:19]
	v_fmac_f64_e32 v[48:49], v[108:109], v[16:17]
	v_mul_f64 v[16:17], v[110:111], v[16:17]
	v_fma_f64 v[16:17], v[108:109], v[18:19], -v[16:17]
	v_mul_f64 v[18:19], v[100:101], v[10:11]
	v_fmac_f64_e32 v[18:19], v[98:99], v[8:9]
	v_mul_f64 v[8:9], v[100:101], v[8:9]
	v_fma_f64 v[8:9], v[98:99], v[10:11], -v[8:9]
	s_waitcnt lgkmcnt(3)
	v_mul_f64 v[10:11], v[126:127], v[34:35]
	v_accvgpr_read_b32 v53, a27
	v_fmac_f64_e32 v[10:11], v[124:125], v[32:33]
	v_mul_f64 v[32:33], v[126:127], v[32:33]
	v_accvgpr_read_b32 v52, a26
	v_fma_f64 v[32:33], v[124:125], v[34:35], -v[32:33]
	v_accvgpr_read_b32 v51, a25
	v_accvgpr_read_b32 v50, a24
	v_mul_f64 v[34:35], v[52:53], v[26:27]
	v_fmac_f64_e32 v[34:35], v[50:51], v[24:25]
	v_mul_f64 v[24:25], v[52:53], v[24:25]
	v_fma_f64 v[24:25], v[50:51], v[26:27], -v[24:25]
	v_accvgpr_read_b32 v53, a23
	v_accvgpr_read_b32 v52, a22
	;; [unrolled: 1-line block ×4, first 2 shown]
	v_mul_f64 v[26:27], v[52:53], v[14:15]
	v_accvgpr_read_b32 v57, a19
	v_fmac_f64_e32 v[26:27], v[50:51], v[12:13]
	v_mul_f64 v[12:13], v[52:53], v[12:13]
	v_accvgpr_read_b32 v56, a18
	v_fma_f64 v[50:51], v[50:51], v[14:15], -v[12:13]
	v_accvgpr_read_b32 v55, a17
	v_accvgpr_read_b32 v54, a16
	s_waitcnt lgkmcnt(1)
	v_mul_f64 v[52:53], v[56:57], v[42:43]
	v_mul_f64 v[12:13], v[56:57], v[40:41]
	v_fmac_f64_e32 v[52:53], v[54:55], v[40:41]
	v_fma_f64 v[40:41], v[54:55], v[42:43], -v[12:13]
	v_accvgpr_read_b32 v57, a39
	v_accvgpr_read_b32 v56, a38
	v_accvgpr_read_b32 v55, a37
	v_accvgpr_read_b32 v54, a36
	v_mul_f64 v[42:43], v[56:57], v[30:31]
	v_mul_f64 v[12:13], v[56:57], v[28:29]
	v_fmac_f64_e32 v[42:43], v[54:55], v[28:29]
	v_fma_f64 v[54:55], v[54:55], v[30:31], -v[12:13]
	v_accvgpr_read_b32 v28, a32
	v_accvgpr_read_b32 v30, a34
	v_accvgpr_read_b32 v31, a35
	v_accvgpr_read_b32 v29, a33
	;; [unrolled: 8-line block ×3, first 2 shown]
	s_waitcnt lgkmcnt(0)
	v_mul_f64 v[38:39], v[30:31], v[46:47]
	v_mul_f64 v[12:13], v[30:31], v[44:45]
	v_fmac_f64_e32 v[38:39], v[28:29], v[44:45]
	v_fma_f64 v[44:45], v[28:29], v[46:47], -v[12:13]
	v_add_f64 v[28:29], v[2:3], -v[8:9]
	v_add_f64 v[30:31], v[16:17], -v[32:33]
	v_fma_f64 v[12:13], v[2:3], 2.0, -v[28:29]
	v_fma_f64 v[2:3], v[16:17], 2.0, -v[30:31]
	v_add_f64 v[18:19], v[0:1], -v[18:19]
	v_add_f64 v[14:15], v[48:49], -v[10:11]
	;; [unrolled: 1-line block ×3, first 2 shown]
	v_fma_f64 v[8:9], v[0:1], 2.0, -v[18:19]
	v_fma_f64 v[0:1], v[48:49], 2.0, -v[14:15]
	;; [unrolled: 1-line block ×3, first 2 shown]
	v_add_f64 v[12:13], v[18:19], v[30:31]
	v_add_f64 v[14:15], v[28:29], -v[14:15]
	v_add_f64 v[32:33], v[4:5], -v[26:27]
	;; [unrolled: 1-line block ×5, first 2 shown]
	v_fma_f64 v[16:17], v[18:19], 2.0, -v[12:13]
	v_fma_f64 v[18:19], v[28:29], 2.0, -v[14:15]
	;; [unrolled: 1-line block ×6, first 2 shown]
	v_add_f64 v[4:5], v[26:27], -v[4:5]
	v_add_f64 v[6:7], v[28:29], -v[6:7]
	;; [unrolled: 1-line block ×5, first 2 shown]
	v_fma_f64 v[24:25], v[26:27], 2.0, -v[4:5]
	v_fma_f64 v[26:27], v[28:29], 2.0, -v[6:7]
	v_add_f64 v[28:29], v[32:33], v[40:41]
	v_fma_f64 v[34:35], v[46:47], 2.0, -v[30:31]
	v_add_f64 v[46:47], v[20:21], -v[56:57]
	v_fma_f64 v[40:41], v[22:23], 2.0, -v[48:49]
	v_add_f64 v[50:51], v[42:43], -v[38:39]
	v_fma_f64 v[22:23], v[54:55], 2.0, -v[44:45]
	v_fma_f64 v[36:37], v[20:21], 2.0, -v[46:47]
	;; [unrolled: 1-line block ×3, first 2 shown]
	v_add_f64 v[22:23], v[40:41], -v[22:23]
	v_add_f64 v[0:1], v[8:9], -v[0:1]
	;; [unrolled: 1-line block ×3, first 2 shown]
	v_fma_f64 v[38:39], v[40:41], 2.0, -v[22:23]
	v_add_f64 v[40:41], v[46:47], v[44:45]
	v_add_f64 v[42:43], v[48:49], -v[50:51]
	v_accvgpr_read_b32 v53, a47
	v_fma_f64 v[8:9], v[8:9], 2.0, -v[0:1]
	v_fma_f64 v[32:33], v[32:33], 2.0, -v[28:29]
	;; [unrolled: 1-line block ×5, first 2 shown]
	v_accvgpr_read_b32 v52, a46
	s_barrier
	ds_write_b128 v102, v[8:11]
	ds_write_b128 v102, v[16:19] offset:272
	ds_write_b128 v102, v[0:3] offset:544
	ds_write_b128 v102, v[12:15] offset:816
	ds_write_b128 v97, v[24:27]
	ds_write_b128 v97, v[32:35] offset:272
	ds_write_b128 v97, v[4:7] offset:544
	ds_write_b128 v97, v[28:31] offset:816
	;; [unrolled: 4-line block ×3, first 2 shown]
	s_waitcnt lgkmcnt(0)
	s_barrier
	ds_read_b128 v[8:11], v96
	ds_read_b128 v[12:15], v96 offset:2720
	ds_read_b128 v[0:3], v96 offset:10880
	;; [unrolled: 1-line block ×11, first 2 shown]
	v_accvgpr_read_b32 v51, a45
	v_accvgpr_read_b32 v50, a44
	s_waitcnt lgkmcnt(9)
	v_mul_f64 v[48:49], v[52:53], v[2:3]
	v_fmac_f64_e32 v[48:49], v[50:51], v[0:1]
	v_mul_f64 v[0:1], v[52:53], v[0:1]
	v_fma_f64 v[0:1], v[50:51], v[2:3], -v[0:1]
	v_accvgpr_read_b32 v53, a43
	v_accvgpr_read_b32 v52, a42
	;; [unrolled: 1-line block ×4, first 2 shown]
	s_waitcnt lgkmcnt(7)
	v_mul_f64 v[2:3], v[52:53], v[26:27]
	v_fmac_f64_e32 v[2:3], v[50:51], v[24:25]
	v_mul_f64 v[24:25], v[52:53], v[24:25]
	v_accvgpr_read_b32 v52, a60
	v_accvgpr_read_b32 v54, a62
	;; [unrolled: 1-line block ×3, first 2 shown]
	v_fma_f64 v[26:27], v[50:51], v[26:27], -v[24:25]
	v_accvgpr_read_b32 v53, a61
	v_mul_f64 v[50:51], v[54:55], v[22:23]
	v_fmac_f64_e32 v[50:51], v[52:53], v[20:21]
	v_mul_f64 v[20:21], v[54:55], v[20:21]
	v_fma_f64 v[52:53], v[52:53], v[22:23], -v[20:21]
	v_accvgpr_read_b32 v22, a56
	v_accvgpr_read_b32 v24, a58
	v_accvgpr_read_b32 v25, a59
	v_accvgpr_read_b32 v23, a57
	s_waitcnt lgkmcnt(6)
	v_mul_f64 v[54:55], v[24:25], v[30:31]
	v_mul_f64 v[20:21], v[24:25], v[28:29]
	v_fmac_f64_e32 v[54:55], v[22:23], v[28:29]
	v_fma_f64 v[56:57], v[22:23], v[30:31], -v[20:21]
	v_accvgpr_read_b32 v22, a80
	v_accvgpr_read_b32 v24, a82
	v_accvgpr_read_b32 v25, a83
	v_accvgpr_read_b32 v23, a81
	s_waitcnt lgkmcnt(3)
	v_mul_f64 v[58:59], v[24:25], v[34:35]
	v_mul_f64 v[20:21], v[24:25], v[32:33]
	v_fmac_f64_e32 v[58:59], v[22:23], v[32:33]
	;; [unrolled: 9-line block ×3, first 2 shown]
	v_fma_f64 v[42:43], v[22:23], v[42:43], -v[20:21]
	v_accvgpr_read_b32 v22, a96
	v_accvgpr_read_b32 v24, a98
	;; [unrolled: 1-line block ×4, first 2 shown]
	v_mul_f64 v[64:65], v[24:25], v[38:39]
	v_mul_f64 v[20:21], v[24:25], v[36:37]
	v_fmac_f64_e32 v[64:65], v[22:23], v[36:37]
	v_fma_f64 v[66:67], v[22:23], v[38:39], -v[20:21]
	v_accvgpr_read_b32 v22, a92
	v_accvgpr_read_b32 v24, a94
	;; [unrolled: 1-line block ×4, first 2 shown]
	s_waitcnt lgkmcnt(0)
	v_mul_f64 v[68:69], v[24:25], v[46:47]
	v_mul_f64 v[20:21], v[24:25], v[44:45]
	v_fmac_f64_e32 v[68:69], v[22:23], v[44:45]
	v_fma_f64 v[70:71], v[22:23], v[46:47], -v[20:21]
	v_add_f64 v[22:23], v[48:49], v[2:3]
	s_mov_b32 s2, 0xe8584caa
	v_add_f64 v[20:21], v[8:9], v[48:49]
	v_fmac_f64_e32 v[8:9], -0.5, v[22:23]
	v_add_f64 v[22:23], v[0:1], -v[26:27]
	s_mov_b32 s3, 0xbfebb67a
	s_mov_b32 s11, 0x3febb67a
	s_mov_b32 s10, s2
	v_fma_f64 v[24:25], s[2:3], v[22:23], v[8:9]
	v_fmac_f64_e32 v[8:9], s[10:11], v[22:23]
	v_add_f64 v[22:23], v[10:11], v[0:1]
	v_add_f64 v[0:1], v[0:1], v[26:27]
	v_fmac_f64_e32 v[10:11], -0.5, v[0:1]
	v_add_f64 v[0:1], v[48:49], -v[2:3]
	v_add_f64 v[22:23], v[22:23], v[26:27]
	v_fma_f64 v[26:27], s[10:11], v[0:1], v[10:11]
	v_fmac_f64_e32 v[10:11], s[2:3], v[0:1]
	v_add_f64 v[0:1], v[12:13], v[50:51]
	v_add_f64 v[28:29], v[0:1], v[54:55]
	;; [unrolled: 1-line block ×3, first 2 shown]
	v_fmac_f64_e32 v[12:13], -0.5, v[0:1]
	v_add_f64 v[0:1], v[52:53], -v[56:57]
	v_fma_f64 v[32:33], s[2:3], v[0:1], v[12:13]
	v_fmac_f64_e32 v[12:13], s[10:11], v[0:1]
	v_add_f64 v[0:1], v[14:15], v[52:53]
	v_add_f64 v[30:31], v[0:1], v[56:57]
	;; [unrolled: 1-line block ×4, first 2 shown]
	v_fmac_f64_e32 v[14:15], -0.5, v[0:1]
	v_add_f64 v[0:1], v[50:51], -v[54:55]
	v_fma_f64 v[34:35], s[10:11], v[0:1], v[14:15]
	v_fmac_f64_e32 v[14:15], s[2:3], v[0:1]
	s_barrier
	ds_write_b128 v245, v[20:23]
	ds_write_b128 v245, v[24:27] offset:1088
	ds_write_b128 v245, v[8:11] offset:2176
	ds_write_b128 v255, v[28:31]
	ds_write_b128 v255, v[32:35] offset:1088
	ds_write_b128 v255, v[12:15] offset:2176
	scratch_load_dword v8, off, off         ; 4-byte Folded Reload
	v_add_f64 v[0:1], v[16:17], v[58:59]
	v_add_f64 v[36:37], v[0:1], v[62:63]
	v_add_f64 v[0:1], v[58:59], v[62:63]
	v_fmac_f64_e32 v[16:17], -0.5, v[0:1]
	v_add_f64 v[0:1], v[60:61], -v[42:43]
	v_fma_f64 v[40:41], s[2:3], v[0:1], v[16:17]
	v_fmac_f64_e32 v[16:17], s[10:11], v[0:1]
	v_add_f64 v[0:1], v[18:19], v[60:61]
	v_add_f64 v[38:39], v[0:1], v[42:43]
	v_add_f64 v[0:1], v[60:61], v[42:43]
	v_fmac_f64_e32 v[18:19], -0.5, v[0:1]
	v_add_f64 v[0:1], v[58:59], -v[62:63]
	v_fma_f64 v[42:43], s[10:11], v[0:1], v[18:19]
	v_fmac_f64_e32 v[18:19], s[2:3], v[0:1]
	v_add_f64 v[0:1], v[4:5], v[64:65]
	v_add_f64 v[44:45], v[0:1], v[68:69]
	v_add_f64 v[0:1], v[64:65], v[68:69]
	v_fmac_f64_e32 v[4:5], -0.5, v[0:1]
	v_add_f64 v[2:3], v[66:67], -v[70:71]
	v_fma_f64 v[0:1], s[2:3], v[2:3], v[4:5]
	v_fmac_f64_e32 v[4:5], s[10:11], v[2:3]
	v_add_f64 v[2:3], v[6:7], v[66:67]
	v_add_f64 v[46:47], v[2:3], v[70:71]
	v_add_f64 v[2:3], v[66:67], v[70:71]
	v_fmac_f64_e32 v[6:7], -0.5, v[2:3]
	v_add_f64 v[48:49], v[64:65], -v[68:69]
	s_waitcnt vmcnt(0)
	ds_write_b128 v8, v[36:39]
	ds_write_b128 v8, v[40:43] offset:1088
	ds_write_b128 v8, v[16:19] offset:2176
	v_accvgpr_read_b32 v8, a101
	v_fma_f64 v[2:3], s[10:11], v[48:49], v[6:7]
	v_fmac_f64_e32 v[6:7], s[2:3], v[48:49]
	ds_write_b128 v8, v[44:47]
	ds_write_b128 v8, v[0:3] offset:1088
	ds_write_b128 v8, v[4:7] offset:2176
	s_waitcnt lgkmcnt(0)
	s_barrier
	ds_read_b128 v[8:11], v96
	ds_read_b128 v[44:47], v96 offset:3264
	ds_read_b128 v[40:43], v96 offset:6528
	ds_read_b128 v[36:39], v96 offset:9792
	ds_read_b128 v[32:35], v96 offset:13056
	ds_read_b128 v[28:31], v96 offset:16320
	ds_read_b128 v[24:27], v96 offset:19584
	ds_read_b128 v[20:23], v96 offset:22848
	ds_read_b128 v[16:19], v96 offset:26112
	ds_read_b128 v[12:15], v96 offset:29376
	s_and_saveexec_b64 s[2:3], s[0:1]
	s_cbranch_execz .LBB0_19
; %bb.18:
	ds_read_b128 v[0:3], v96 offset:2720
	ds_read_b128 v[4:7], v96 offset:5984
	;; [unrolled: 1-line block ×10, first 2 shown]
.LBB0_19:
	s_or_b64 exec, exec, s[2:3]
	v_accvgpr_read_b32 v50, a132
	v_accvgpr_read_b32 v52, a134
	v_accvgpr_read_b32 v53, a135
	v_accvgpr_read_b32 v51, a133
	s_waitcnt lgkmcnt(8)
	v_mul_f64 v[48:49], v[52:53], v[46:47]
	v_fmac_f64_e32 v[48:49], v[50:51], v[44:45]
	v_mul_f64 v[44:45], v[52:53], v[44:45]
	v_fma_f64 v[44:45], v[50:51], v[46:47], -v[44:45]
	v_accvgpr_read_b32 v50, a116
	v_accvgpr_read_b32 v52, a118
	v_accvgpr_read_b32 v53, a119
	v_accvgpr_read_b32 v51, a117
	s_waitcnt lgkmcnt(7)
	v_mul_f64 v[46:47], v[52:53], v[42:43]
	v_fmac_f64_e32 v[46:47], v[50:51], v[40:41]
	v_mul_f64 v[40:41], v[52:53], v[40:41]
	v_fma_f64 v[40:41], v[50:51], v[42:43], -v[40:41]
	;; [unrolled: 9-line block ×8, first 2 shown]
	s_waitcnt lgkmcnt(0)
	v_mul_f64 v[18:19], v[138:139], v[14:15]
	v_fmac_f64_e32 v[18:19], v[136:137], v[12:13]
	v_mul_f64 v[12:13], v[138:139], v[12:13]
	v_fma_f64 v[12:13], v[136:137], v[14:15], -v[12:13]
	v_add_f64 v[14:15], v[8:9], v[46:47]
	v_add_f64 v[14:15], v[14:15], v[38:39]
	;; [unrolled: 1-line block ×5, first 2 shown]
	s_mov_b32 s2, 0x134454ff
	v_fma_f64 v[52:53], -0.5, v[14:15], v[8:9]
	v_add_f64 v[14:15], v[40:41], -v[16:17]
	s_mov_b32 s3, 0xbfee6f0e
	s_mov_b32 s10, 0x4755a5e
	;; [unrolled: 1-line block ×4, first 2 shown]
	v_fma_f64 v[54:55], s[2:3], v[14:15], v[52:53]
	v_add_f64 v[56:57], v[32:33], -v[24:25]
	s_mov_b32 s11, 0xbfe2cf23
	v_add_f64 v[58:59], v[46:47], -v[38:39]
	v_add_f64 v[60:61], v[22:23], -v[30:31]
	s_mov_b32 s14, 0x372fe950
	v_fmac_f64_e32 v[52:53], s[16:17], v[14:15]
	s_mov_b32 s19, 0x3fe2cf23
	s_mov_b32 s18, s10
	v_fmac_f64_e32 v[54:55], s[10:11], v[56:57]
	v_add_f64 v[58:59], v[58:59], v[60:61]
	s_mov_b32 s15, 0x3fd3c6ef
	v_fmac_f64_e32 v[52:53], s[18:19], v[56:57]
	v_fmac_f64_e32 v[54:55], s[14:15], v[58:59]
	;; [unrolled: 1-line block ×3, first 2 shown]
	v_add_f64 v[58:59], v[46:47], v[22:23]
	v_fmac_f64_e32 v[8:9], -0.5, v[58:59]
	v_fma_f64 v[58:59], s[16:17], v[56:57], v[8:9]
	v_fmac_f64_e32 v[8:9], s[2:3], v[56:57]
	v_fmac_f64_e32 v[58:59], s[10:11], v[14:15]
	;; [unrolled: 1-line block ×3, first 2 shown]
	v_add_f64 v[14:15], v[10:11], v[40:41]
	v_add_f64 v[14:15], v[14:15], v[32:33]
	v_add_f64 v[60:61], v[38:39], -v[46:47]
	v_add_f64 v[62:63], v[30:31], -v[22:23]
	v_add_f64 v[14:15], v[14:15], v[24:25]
	v_add_f64 v[60:61], v[60:61], v[62:63]
	;; [unrolled: 1-line block ×4, first 2 shown]
	v_fmac_f64_e32 v[58:59], s[14:15], v[60:61]
	v_fmac_f64_e32 v[8:9], s[14:15], v[60:61]
	v_fma_f64 v[60:61], -0.5, v[14:15], v[10:11]
	v_add_f64 v[14:15], v[46:47], -v[22:23]
	v_fma_f64 v[46:47], s[16:17], v[14:15], v[60:61]
	v_add_f64 v[22:23], v[38:39], -v[30:31]
	v_add_f64 v[30:31], v[40:41], -v[32:33]
	;; [unrolled: 1-line block ×3, first 2 shown]
	v_fmac_f64_e32 v[60:61], s[2:3], v[14:15]
	v_fmac_f64_e32 v[46:47], s[18:19], v[22:23]
	v_add_f64 v[30:31], v[30:31], v[38:39]
	v_fmac_f64_e32 v[60:61], s[10:11], v[22:23]
	v_fmac_f64_e32 v[46:47], s[14:15], v[30:31]
	v_fmac_f64_e32 v[60:61], s[14:15], v[30:31]
	v_add_f64 v[30:31], v[40:41], v[16:17]
	v_fmac_f64_e32 v[10:11], -0.5, v[30:31]
	v_fma_f64 v[62:63], s[2:3], v[22:23], v[10:11]
	v_fmac_f64_e32 v[10:11], s[16:17], v[22:23]
	v_fmac_f64_e32 v[62:63], s[18:19], v[14:15]
	;; [unrolled: 1-line block ×3, first 2 shown]
	v_add_f64 v[14:15], v[48:49], v[42:43]
	v_add_f64 v[14:15], v[14:15], v[34:35]
	;; [unrolled: 1-line block ×3, first 2 shown]
	v_add_f64 v[30:31], v[32:33], -v[40:41]
	v_add_f64 v[16:17], v[24:25], -v[16:17]
	v_add_f64 v[32:33], v[14:15], v[18:19]
	v_add_f64 v[14:15], v[34:35], v[26:27]
	;; [unrolled: 1-line block ×3, first 2 shown]
	v_fma_f64 v[30:31], -0.5, v[14:15], v[48:49]
	v_add_f64 v[14:15], v[36:37], -v[12:13]
	v_fmac_f64_e32 v[62:63], s[14:15], v[16:17]
	v_fmac_f64_e32 v[10:11], s[14:15], v[16:17]
	v_fma_f64 v[22:23], s[2:3], v[14:15], v[30:31]
	v_add_f64 v[16:17], v[28:29], -v[20:21]
	v_add_f64 v[24:25], v[42:43], -v[34:35]
	;; [unrolled: 1-line block ×3, first 2 shown]
	v_fmac_f64_e32 v[30:31], s[16:17], v[14:15]
	v_fmac_f64_e32 v[22:23], s[10:11], v[16:17]
	v_add_f64 v[24:25], v[24:25], v[38:39]
	v_fmac_f64_e32 v[30:31], s[18:19], v[16:17]
	v_fmac_f64_e32 v[22:23], s[14:15], v[24:25]
	;; [unrolled: 1-line block ×3, first 2 shown]
	v_add_f64 v[24:25], v[42:43], v[18:19]
	v_fmac_f64_e32 v[48:49], -0.5, v[24:25]
	v_fma_f64 v[38:39], s[16:17], v[16:17], v[48:49]
	v_fmac_f64_e32 v[48:49], s[2:3], v[16:17]
	v_fmac_f64_e32 v[38:39], s[10:11], v[14:15]
	;; [unrolled: 1-line block ×3, first 2 shown]
	v_add_f64 v[14:15], v[44:45], v[36:37]
	v_add_f64 v[14:15], v[14:15], v[28:29]
	;; [unrolled: 1-line block ×3, first 2 shown]
	v_add_f64 v[24:25], v[34:35], -v[42:43]
	v_add_f64 v[40:41], v[26:27], -v[18:19]
	v_add_f64 v[64:65], v[14:15], v[12:13]
	v_add_f64 v[14:15], v[28:29], v[20:21]
	;; [unrolled: 1-line block ×3, first 2 shown]
	v_fma_f64 v[40:41], -0.5, v[14:15], v[44:45]
	v_add_f64 v[14:15], v[42:43], -v[18:19]
	v_fmac_f64_e32 v[38:39], s[14:15], v[24:25]
	v_fmac_f64_e32 v[48:49], s[14:15], v[24:25]
	v_fma_f64 v[18:19], s[16:17], v[14:15], v[40:41]
	v_add_f64 v[16:17], v[34:35], -v[26:27]
	v_add_f64 v[24:25], v[36:37], -v[28:29]
	;; [unrolled: 1-line block ×3, first 2 shown]
	v_fmac_f64_e32 v[40:41], s[2:3], v[14:15]
	v_fmac_f64_e32 v[18:19], s[18:19], v[16:17]
	v_add_f64 v[24:25], v[24:25], v[26:27]
	v_fmac_f64_e32 v[40:41], s[10:11], v[16:17]
	v_fmac_f64_e32 v[18:19], s[14:15], v[24:25]
	;; [unrolled: 1-line block ×3, first 2 shown]
	v_add_f64 v[24:25], v[36:37], v[12:13]
	v_fmac_f64_e32 v[44:45], -0.5, v[24:25]
	v_fma_f64 v[26:27], s[2:3], v[16:17], v[44:45]
	v_add_f64 v[24:25], v[28:29], -v[36:37]
	v_add_f64 v[12:13], v[20:21], -v[12:13]
	v_fmac_f64_e32 v[44:45], s[16:17], v[16:17]
	v_add_f64 v[12:13], v[24:25], v[12:13]
	v_fmac_f64_e32 v[44:45], s[10:11], v[14:15]
	v_fmac_f64_e32 v[26:27], s[18:19], v[14:15]
	;; [unrolled: 1-line block ×3, first 2 shown]
	s_mov_b32 s20, 0x9b97f4a8
	s_mov_b32 s23, 0xbfd3c6ef
	;; [unrolled: 1-line block ×3, first 2 shown]
	v_fmac_f64_e32 v[26:27], s[14:15], v[12:13]
	s_mov_b32 s21, 0x3fe9e377
	v_mul_f64 v[66:67], v[44:45], s[2:3]
	s_mov_b32 s27, 0xbfe9e377
	s_mov_b32 s26, s20
	v_mul_f64 v[74:75], v[44:45], s[22:23]
	v_mul_f64 v[34:35], v[18:19], s[10:11]
	;; [unrolled: 1-line block ×3, first 2 shown]
	v_fmac_f64_e32 v[66:67], s[22:23], v[48:49]
	v_mul_f64 v[68:69], v[40:41], s[10:11]
	v_mul_f64 v[70:71], v[18:19], s[20:21]
	;; [unrolled: 1-line block ×3, first 2 shown]
	v_fmac_f64_e32 v[74:75], s[16:17], v[48:49]
	v_mul_f64 v[48:49], v[40:41], s[26:27]
	v_add_f64 v[12:13], v[50:51], v[32:33]
	v_fmac_f64_e32 v[34:35], s[20:21], v[22:23]
	v_fmac_f64_e32 v[42:43], s[14:15], v[38:39]
	;; [unrolled: 1-line block ×3, first 2 shown]
	v_add_f64 v[14:15], v[56:57], v[64:65]
	v_fmac_f64_e32 v[70:71], s[18:19], v[22:23]
	v_fmac_f64_e32 v[72:73], s[16:17], v[38:39]
	;; [unrolled: 1-line block ×3, first 2 shown]
	v_add_f64 v[16:17], v[54:55], v[34:35]
	v_add_f64 v[20:21], v[58:59], v[42:43]
	;; [unrolled: 1-line block ×8, first 2 shown]
	v_add_f64 v[32:33], v[50:51], -v[32:33]
	v_add_f64 v[36:37], v[54:55], -v[34:35]
	v_add_f64 v[40:41], v[58:59], -v[42:43]
	v_add_f64 v[8:9], v[8:9], -v[66:67]
	v_add_f64 v[44:45], v[52:53], -v[68:69]
	v_add_f64 v[34:35], v[56:57], -v[64:65]
	v_add_f64 v[38:39], v[46:47], -v[70:71]
	v_add_f64 v[42:43], v[62:63], -v[72:73]
	v_add_f64 v[10:11], v[10:11], -v[74:75]
	v_add_f64 v[46:47], v[60:61], -v[48:49]
	ds_write_b128 v96, v[12:15]
	ds_write_b128 v96, v[16:19] offset:3264
	ds_write_b128 v96, v[20:23] offset:6528
	;; [unrolled: 1-line block ×9, first 2 shown]
	s_and_saveexec_b64 s[24:25], s[0:1]
	s_cbranch_execz .LBB0_21
; %bb.20:
	scratch_load_dwordx4 v[28:31], off, off offset:4 ; 16-byte Folded Reload
	scratch_load_dwordx4 v[60:63], off, off offset:20 ; 16-byte Folded Reload
	;; [unrolled: 1-line block ×4, first 2 shown]
	v_accvgpr_read_b32 v40, a152
	v_accvgpr_read_b32 v41, a153
	;; [unrolled: 1-line block ×16, first 2 shown]
	v_mul_f64 v[44:45], v[134:135], v[66:67]
	v_fmac_f64_e32 v[44:45], v[132:133], v[64:65]
	v_mul_f64 v[48:49], v[118:119], v[6:7]
	v_fmac_f64_e32 v[48:49], v[116:117], v[4:5]
	v_mul_f64 v[4:5], v[118:119], v[4:5]
	v_fma_f64 v[6:7], v[116:117], v[6:7], -v[4:5]
	s_waitcnt vmcnt(3)
	v_mul_f64 v[8:9], v[30:31], v[236:237]
	v_fma_f64 v[10:11], v[28:29], v[238:239], -v[8:9]
	s_waitcnt vmcnt(1)
	v_mul_f64 v[12:13], v[34:35], v[40:41]
	v_mul_f64 v[8:9], v[122:123], v[224:225]
	v_fma_f64 v[18:19], v[32:33], v[42:43], -v[12:13]
	s_waitcnt vmcnt(0)
	v_mul_f64 v[12:13], v[38:39], v[228:229]
	v_mul_f64 v[24:25], v[30:31], v[238:239]
	v_fma_f64 v[14:15], v[120:121], v[226:227], -v[8:9]
	v_fma_f64 v[22:23], v[36:37], v[230:231], -v[12:13]
	v_fmac_f64_e32 v[24:25], v[28:29], v[236:237]
	v_mul_f64 v[28:29], v[34:35], v[42:43]
	v_add_f64 v[8:9], v[10:11], -v[14:15]
	v_add_f64 v[12:13], v[18:19], -v[22:23]
	v_fmac_f64_e32 v[28:29], v[32:33], v[40:41]
	v_mul_f64 v[34:35], v[38:39], v[230:231]
	v_mul_f64 v[38:39], v[114:115], v[234:235]
	;; [unrolled: 1-line block ×4, first 2 shown]
	v_add_f64 v[16:17], v[8:9], v[12:13]
	v_add_f64 v[8:9], v[14:15], v[22:23]
	v_fmac_f64_e32 v[38:39], v[112:113], v[232:233]
	v_fmac_f64_e32 v[40:41], v[60:61], v[220:221]
	;; [unrolled: 1-line block ×3, first 2 shown]
	v_fma_f64 v[26:27], -0.5, v[8:9], v[2:3]
	v_add_f64 v[8:9], v[38:39], -v[40:41]
	v_add_f64 v[12:13], v[42:43], -v[44:45]
	v_add_f64 v[46:47], v[8:9], v[12:13]
	v_add_f64 v[8:9], v[40:41], v[44:45]
	v_fma_f64 v[50:51], -0.5, v[8:9], v[48:49]
	v_mul_f64 v[8:9], v[114:115], v[232:233]
	v_fma_f64 v[52:53], v[112:113], v[234:235], -v[8:9]
	v_mul_f64 v[8:9], v[56:57], v[68:69]
	v_fma_f64 v[54:55], v[54:55], v[70:71], -v[8:9]
	;; [unrolled: 2-line block ×4, first 2 shown]
	v_add_f64 v[8:9], v[52:53], -v[60:61]
	v_add_f64 v[12:13], v[54:55], -v[62:63]
	v_add_f64 v[66:67], v[8:9], v[12:13]
	v_add_f64 v[8:9], v[14:15], -v[10:11]
	v_add_f64 v[12:13], v[22:23], -v[18:19]
	v_add_f64 v[12:13], v[8:9], v[12:13]
	v_add_f64 v[8:9], v[10:11], v[18:19]
	v_add_f64 v[56:57], v[52:53], -v[54:55]
	v_fma_f64 v[78:79], -0.5, v[8:9], v[2:3]
	v_add_f64 v[2:3], v[10:11], v[2:3]
	v_fma_f64 v[58:59], s[16:17], v[56:57], v[50:51]
	v_add_f64 v[64:65], v[60:61], -v[62:63]
	v_fmac_f64_e32 v[50:51], s[2:3], v[56:57]
	v_add_f64 v[2:3], v[14:15], v[2:3]
	v_fmac_f64_e32 v[58:59], s[18:19], v[64:65]
	v_add_f64 v[8:9], v[40:41], -v[38:39]
	v_add_f64 v[82:83], v[44:45], -v[42:43]
	v_fmac_f64_e32 v[50:51], s[10:11], v[64:65]
	v_add_f64 v[2:3], v[22:23], v[2:3]
	v_fmac_f64_e32 v[58:59], s[14:15], v[46:47]
	v_add_f64 v[4:5], v[60:61], v[62:63]
	v_add_f64 v[82:83], v[8:9], v[82:83]
	;; [unrolled: 1-line block ×3, first 2 shown]
	v_fmac_f64_e32 v[50:51], s[14:15], v[46:47]
	v_add_f64 v[46:47], v[18:19], v[2:3]
	v_add_f64 v[2:3], v[6:7], v[52:53]
	v_mul_f64 v[32:33], v[122:123], v[226:227]
	v_fma_f64 v[68:69], -0.5, v[4:5], v[6:7]
	v_add_f64 v[70:71], v[38:39], -v[42:43]
	v_fma_f64 v[84:85], -0.5, v[8:9], v[48:49]
	v_add_f64 v[8:9], v[60:61], -v[52:53]
	v_add_f64 v[88:89], v[62:63], -v[54:55]
	v_add_f64 v[2:3], v[2:3], v[60:61]
	v_fmac_f64_e32 v[32:33], v[120:121], v[224:225]
	v_fmac_f64_e32 v[34:35], v[36:37], v[228:229]
	v_fma_f64 v[72:73], s[2:3], v[70:71], v[68:69]
	v_add_f64 v[74:75], v[40:41], -v[44:45]
	v_add_f64 v[88:89], v[8:9], v[88:89]
	v_add_f64 v[8:9], v[52:53], v[54:55]
	v_add_f64 v[2:3], v[2:3], v[62:63]
	v_fmac_f64_e32 v[72:73], s[10:11], v[74:75]
	v_fma_f64 v[90:91], -0.5, v[8:9], v[6:7]
	v_add_f64 v[52:53], v[2:3], v[54:55]
	v_add_f64 v[2:3], v[24:25], -v[32:33]
	v_add_f64 v[6:7], v[28:29], -v[34:35]
	v_fmac_f64_e32 v[72:73], s[14:15], v[66:67]
	v_add_f64 v[54:55], v[2:3], v[6:7]
	v_add_f64 v[18:19], v[10:11], -v[18:19]
	v_add_f64 v[6:7], v[32:33], -v[24:25]
	;; [unrolled: 1-line block ×3, first 2 shown]
	v_mul_f64 v[76:77], v[72:73], s[26:27]
	v_add_f64 v[14:15], v[14:15], -v[22:23]
	v_mul_f64 v[22:23], v[72:73], s[10:11]
	v_add_f64 v[10:11], v[6:7], v[10:11]
	v_add_f64 v[6:7], v[24:25], v[28:29]
	v_fmac_f64_e32 v[76:77], s[18:19], v[58:59]
	v_fma_f64 v[86:87], s[2:3], v[64:65], v[84:85]
	v_fmac_f64_e32 v[84:85], s[16:17], v[64:65]
	v_add_f64 v[2:3], v[32:33], v[34:35]
	v_fmac_f64_e32 v[22:23], s[26:27], v[58:59]
	v_fma_f64 v[58:59], -0.5, v[6:7], v[0:1]
	v_fmac_f64_e32 v[86:87], s[18:19], v[56:57]
	v_fmac_f64_e32 v[84:85], s[10:11], v[56:57]
	v_fma_f64 v[56:57], -0.5, v[2:3], v[0:1]
	v_fma_f64 v[62:63], s[2:3], v[14:15], v[58:59]
	v_fmac_f64_e32 v[58:59], s[16:17], v[14:15]
	v_fma_f64 v[92:93], s[16:17], v[74:75], v[90:91]
	v_fmac_f64_e32 v[90:91], s[2:3], v[74:75]
	v_fmac_f64_e32 v[68:69], s[16:17], v[70:71]
	v_fma_f64 v[60:61], s[16:17], v[18:19], v[56:57]
	v_fmac_f64_e32 v[62:63], s[18:19], v[18:19]
	v_fmac_f64_e32 v[58:59], s[10:11], v[18:19]
	;; [unrolled: 1-line block ×3, first 2 shown]
	v_add_f64 v[0:1], v[24:25], v[0:1]
	v_add_f64 v[18:19], v[48:49], v[38:39]
	v_add_f64 v[20:21], v[24:25], -v[28:29]
	v_add_f64 v[36:37], v[32:33], -v[34:35]
	v_fmac_f64_e32 v[92:93], s[10:11], v[70:71]
	v_fmac_f64_e32 v[90:91], s[18:19], v[70:71]
	v_fmac_f64_e32 v[68:69], s[18:19], v[74:75]
	v_add_f64 v[0:1], v[32:33], v[0:1]
	v_add_f64 v[18:19], v[18:19], v[40:41]
	v_fma_f64 v[30:31], s[2:3], v[20:21], v[26:27]
	v_fma_f64 v[80:81], s[16:17], v[36:37], v[78:79]
	v_fmac_f64_e32 v[92:93], s[14:15], v[88:89]
	v_fmac_f64_e32 v[78:79], s[2:3], v[36:37]
	;; [unrolled: 1-line block ×7, first 2 shown]
	v_add_f64 v[0:1], v[34:35], v[0:1]
	v_add_f64 v[18:19], v[18:19], v[44:45]
	v_fmac_f64_e32 v[30:31], s[10:11], v[36:37]
	v_fmac_f64_e32 v[80:81], s[10:11], v[20:21]
	;; [unrolled: 1-line block ×3, first 2 shown]
	v_mul_f64 v[94:95], v[92:93], s[22:23]
	v_fmac_f64_e32 v[78:79], s[18:19], v[20:21]
	v_fmac_f64_e32 v[84:85], s[14:15], v[82:83]
	v_mul_f64 v[82:83], v[90:91], s[14:15]
	v_fmac_f64_e32 v[26:27], s[18:19], v[36:37]
	v_mul_f64 v[36:37], v[68:69], s[20:21]
	;; [unrolled: 2-line block ×3, first 2 shown]
	v_mul_f64 v[66:67], v[90:91], s[2:3]
	v_fmac_f64_e32 v[56:57], s[14:15], v[54:55]
	v_mul_f64 v[54:55], v[68:69], s[10:11]
	v_add_f64 v[0:1], v[28:29], v[0:1]
	v_add_f64 v[38:39], v[18:19], v[42:43]
	v_fmac_f64_e32 v[30:31], s[14:15], v[16:17]
	v_fmac_f64_e32 v[80:81], s[14:15], v[12:13]
	;; [unrolled: 1-line block ×12, first 2 shown]
	v_add_f64 v[18:19], v[0:1], -v[38:39]
	v_add_f64 v[40:41], v[52:53], v[46:47]
	v_add_f64 v[38:39], v[38:39], v[0:1]
	v_add_f64 v[4:5], v[30:31], -v[76:77]
	v_add_f64 v[8:9], v[80:81], -v[94:95]
	v_add_f64 v[12:13], v[78:79], -v[82:83]
	v_add_f64 v[16:17], v[26:27], -v[36:37]
	v_add_f64 v[20:21], v[46:47], -v[52:53]
	v_add_f64 v[2:3], v[60:61], -v[22:23]
	v_add_f64 v[6:7], v[62:63], -v[64:65]
	v_add_f64 v[10:11], v[58:59], -v[66:67]
	v_add_f64 v[14:15], v[56:57], -v[54:55]
	v_add_f64 v[24:25], v[30:31], v[76:77]
	v_add_f64 v[28:29], v[80:81], v[94:95]
	;; [unrolled: 1-line block ×8, first 2 shown]
	ds_write_b128 v96, v[38:41] offset:2720
	ds_write_b128 v96, v[34:37] offset:5984
	;; [unrolled: 1-line block ×10, first 2 shown]
.LBB0_21:
	s_or_b64 exec, exec, s[24:25]
	s_waitcnt lgkmcnt(0)
	s_barrier
	s_and_b64 exec, exec, vcc
	s_cbranch_execz .LBB0_23
; %bb.22:
	global_load_dwordx4 v[0:3], v240, s[8:9]
	v_mad_u64_u32 v[14:15], s[0:1], s6, v254, 0
	v_mad_u64_u32 v[16:17], s[2:3], s4, v244, 0
	v_mov_b32_e32 v22, v15
	ds_read_b128 v[4:7], v96
	ds_read_b128 v[8:11], v240 offset:1920
	ds_read_b128 v[18:21], v240 offset:30720
	v_mov_b32_e32 v24, v17
	v_mad_u64_u32 v[22:23], s[2:3], s7, v254, v[22:23]
	v_mov_b32_e32 v12, s12
	v_mov_b32_e32 v13, s13
	v_mad_u64_u32 v[24:25], s[2:3], s5, v244, v[24:25]
	v_mov_b32_e32 v15, v22
	v_mov_b32_e32 v17, v24
	v_lshl_add_u64 v[12:13], v[14:15], 4, v[12:13]
	s_mov_b32 s0, 0x10101010
	v_lshl_add_u64 v[14:15], v[16:17], 4, v[12:13]
	s_mov_b32 s1, 0x3f401010
	v_mov_b32_e32 v26, 0x780
	s_mul_i32 s6, s5, 0x780
	v_mov_b32_e32 v241, 0
	s_waitcnt vmcnt(0) lgkmcnt(2)
	v_mul_f64 v[16:17], v[6:7], v[2:3]
	v_mul_f64 v[2:3], v[4:5], v[2:3]
	v_fmac_f64_e32 v[16:17], v[4:5], v[0:1]
	v_fma_f64 v[2:3], v[0:1], v[6:7], -v[2:3]
	v_mul_f64 v[0:1], v[16:17], s[0:1]
	v_mul_f64 v[2:3], v[2:3], s[0:1]
	global_store_dwordx4 v[14:15], v[0:3], off
	global_load_dwordx4 v[0:3], v240, s[8:9] offset:1920
	v_mad_u64_u32 v[14:15], s[2:3], s4, v26, v[14:15]
	v_add_u32_e32 v15, s6, v15
	s_movk_i32 s2, 0x1000
	v_lshl_add_u64 v[16:17], s[8:9], 0, v[240:241]
	v_add_co_u32_e32 v22, vcc, s2, v16
	s_waitcnt vmcnt(0) lgkmcnt(1)
	v_mul_f64 v[4:5], v[10:11], v[2:3]
	v_mul_f64 v[2:3], v[8:9], v[2:3]
	v_fmac_f64_e32 v[4:5], v[8:9], v[0:1]
	v_fma_f64 v[2:3], v[0:1], v[10:11], -v[2:3]
	v_mul_f64 v[0:1], v[4:5], s[0:1]
	v_mul_f64 v[2:3], v[2:3], s[0:1]
	global_store_dwordx4 v[14:15], v[0:3], off
	global_load_dwordx4 v[0:3], v240, s[8:9] offset:3840
	ds_read_b128 v[4:7], v240 offset:3840
	ds_read_b128 v[8:11], v240 offset:5760
	v_mad_u64_u32 v[14:15], s[2:3], s4, v26, v[14:15]
	v_add_u32_e32 v15, s6, v15
	v_addc_co_u32_e32 v23, vcc, 0, v17, vcc
	s_waitcnt vmcnt(0) lgkmcnt(1)
	v_mul_f64 v[24:25], v[6:7], v[2:3]
	v_mul_f64 v[2:3], v[4:5], v[2:3]
	v_fmac_f64_e32 v[24:25], v[4:5], v[0:1]
	v_fma_f64 v[2:3], v[0:1], v[6:7], -v[2:3]
	v_mul_f64 v[0:1], v[24:25], s[0:1]
	v_mul_f64 v[2:3], v[2:3], s[0:1]
	global_store_dwordx4 v[14:15], v[0:3], off
	global_load_dwordx4 v[0:3], v[22:23], off offset:1664
	v_mad_u64_u32 v[14:15], s[2:3], s4, v26, v[14:15]
	v_add_u32_e32 v15, s6, v15
	s_movk_i32 s2, 0x2000
	s_waitcnt vmcnt(0) lgkmcnt(0)
	v_mul_f64 v[4:5], v[10:11], v[2:3]
	v_mul_f64 v[2:3], v[8:9], v[2:3]
	v_fmac_f64_e32 v[4:5], v[8:9], v[0:1]
	v_fma_f64 v[2:3], v[0:1], v[10:11], -v[2:3]
	v_mul_f64 v[0:1], v[4:5], s[0:1]
	v_mul_f64 v[2:3], v[2:3], s[0:1]
	global_store_dwordx4 v[14:15], v[0:3], off
	global_load_dwordx4 v[0:3], v[22:23], off offset:3584
	ds_read_b128 v[4:7], v240 offset:7680
	ds_read_b128 v[8:11], v240 offset:9600
	v_add_co_u32_e32 v22, vcc, s2, v16
	v_mad_u64_u32 v[14:15], s[2:3], s4, v26, v[14:15]
	v_add_u32_e32 v15, s6, v15
	v_addc_co_u32_e32 v23, vcc, 0, v17, vcc
	s_waitcnt vmcnt(0) lgkmcnt(1)
	v_mul_f64 v[24:25], v[6:7], v[2:3]
	v_mul_f64 v[2:3], v[4:5], v[2:3]
	v_fmac_f64_e32 v[24:25], v[4:5], v[0:1]
	v_fma_f64 v[2:3], v[0:1], v[6:7], -v[2:3]
	v_mul_f64 v[0:1], v[24:25], s[0:1]
	v_mul_f64 v[2:3], v[2:3], s[0:1]
	global_store_dwordx4 v[14:15], v[0:3], off
	global_load_dwordx4 v[0:3], v[22:23], off offset:1408
	v_mad_u64_u32 v[14:15], s[2:3], s4, v26, v[14:15]
	v_add_u32_e32 v15, s6, v15
	s_movk_i32 s2, 0x3000
	s_waitcnt vmcnt(0) lgkmcnt(0)
	v_mul_f64 v[4:5], v[10:11], v[2:3]
	v_mul_f64 v[2:3], v[8:9], v[2:3]
	v_fmac_f64_e32 v[4:5], v[8:9], v[0:1]
	v_fma_f64 v[2:3], v[0:1], v[10:11], -v[2:3]
	v_mul_f64 v[0:1], v[4:5], s[0:1]
	v_mul_f64 v[2:3], v[2:3], s[0:1]
	global_store_dwordx4 v[14:15], v[0:3], off
	global_load_dwordx4 v[0:3], v[22:23], off offset:3328
	ds_read_b128 v[4:7], v240 offset:11520
	ds_read_b128 v[8:11], v240 offset:13440
	v_add_co_u32_e32 v22, vcc, s2, v16
	;; [unrolled: 27-line block ×5, first 2 shown]
	v_mad_u64_u32 v[14:15], s[2:3], s4, v26, v[14:15]
	v_add_u32_e32 v15, s6, v15
	v_addc_co_u32_e32 v23, vcc, 0, v17, vcc
	s_waitcnt vmcnt(0) lgkmcnt(1)
	v_mul_f64 v[24:25], v[6:7], v[2:3]
	v_mul_f64 v[2:3], v[4:5], v[2:3]
	v_fmac_f64_e32 v[24:25], v[4:5], v[0:1]
	v_fma_f64 v[2:3], v[0:1], v[6:7], -v[2:3]
	v_mul_f64 v[0:1], v[24:25], s[0:1]
	v_mul_f64 v[2:3], v[2:3], s[0:1]
	global_store_dwordx4 v[14:15], v[0:3], off
	global_load_dwordx4 v[0:3], v[22:23], off offset:384
	v_mad_u64_u32 v[14:15], s[2:3], s4, v26, v[14:15]
	v_add_u32_e32 v15, s6, v15
	s_movk_i32 s2, 0x7000
	v_add_co_u32_e32 v16, vcc, s2, v16
	s_waitcnt vmcnt(0) lgkmcnt(0)
	v_mul_f64 v[4:5], v[10:11], v[2:3]
	v_mul_f64 v[2:3], v[8:9], v[2:3]
	v_fmac_f64_e32 v[4:5], v[8:9], v[0:1]
	v_fma_f64 v[2:3], v[0:1], v[10:11], -v[2:3]
	v_mul_f64 v[0:1], v[4:5], s[0:1]
	v_mul_f64 v[2:3], v[2:3], s[0:1]
	global_store_dwordx4 v[14:15], v[0:3], off
	global_load_dwordx4 v[0:3], v[22:23], off offset:2304
	ds_read_b128 v[4:7], v240 offset:26880
	ds_read_b128 v[8:11], v240 offset:28800
	v_mad_u64_u32 v[14:15], s[2:3], s4, v26, v[14:15]
	v_add_u32_e32 v15, s6, v15
	v_addc_co_u32_e32 v17, vcc, 0, v17, vcc
	s_waitcnt vmcnt(0) lgkmcnt(1)
	v_mul_f64 v[22:23], v[6:7], v[2:3]
	v_mul_f64 v[2:3], v[4:5], v[2:3]
	v_fmac_f64_e32 v[22:23], v[4:5], v[0:1]
	v_fma_f64 v[2:3], v[0:1], v[6:7], -v[2:3]
	v_mul_f64 v[0:1], v[22:23], s[0:1]
	v_mul_f64 v[2:3], v[2:3], s[0:1]
	global_store_dwordx4 v[14:15], v[0:3], off
	global_load_dwordx4 v[0:3], v[16:17], off offset:128
	v_mad_u64_u32 v[4:5], s[2:3], s4, v26, v[14:15]
	v_or_b32_e32 v16, 0x780, v244
	v_add_u32_e32 v5, s6, v5
	v_lshlrev_b32_e32 v17, 4, v16
	s_waitcnt vmcnt(0) lgkmcnt(0)
	v_mul_f64 v[6:7], v[10:11], v[2:3]
	v_mul_f64 v[2:3], v[8:9], v[2:3]
	v_fmac_f64_e32 v[6:7], v[8:9], v[0:1]
	v_fma_f64 v[2:3], v[0:1], v[10:11], -v[2:3]
	v_mul_f64 v[0:1], v[6:7], s[0:1]
	v_mul_f64 v[2:3], v[2:3], s[0:1]
	global_store_dwordx4 v[4:5], v[0:3], off
	global_load_dwordx4 v[0:3], v17, s[8:9]
	v_mad_u64_u32 v[4:5], s[2:3], s4, v16, 0
	v_mov_b32_e32 v6, v5
	v_mad_u64_u32 v[6:7], s[2:3], s5, v16, v[6:7]
	v_mov_b32_e32 v5, v6
	v_lshl_add_u64 v[4:5], v[4:5], 4, v[12:13]
	s_waitcnt vmcnt(0)
	v_mul_f64 v[6:7], v[20:21], v[2:3]
	v_mul_f64 v[2:3], v[18:19], v[2:3]
	v_fmac_f64_e32 v[6:7], v[18:19], v[0:1]
	v_fma_f64 v[2:3], v[0:1], v[20:21], -v[2:3]
	v_mul_f64 v[0:1], v[6:7], s[0:1]
	v_mul_f64 v[2:3], v[2:3], s[0:1]
	global_store_dwordx4 v[4:5], v[0:3], off
.LBB0_23:
	s_endpgm
	.section	.rodata,"a",@progbits
	.p2align	6, 0x0
	.amdhsa_kernel bluestein_single_fwd_len2040_dim1_dp_op_CI_CI
		.amdhsa_group_segment_fixed_size 32640
		.amdhsa_private_segment_fixed_size 72
		.amdhsa_kernarg_size 104
		.amdhsa_user_sgpr_count 2
		.amdhsa_user_sgpr_dispatch_ptr 0
		.amdhsa_user_sgpr_queue_ptr 0
		.amdhsa_user_sgpr_kernarg_segment_ptr 1
		.amdhsa_user_sgpr_dispatch_id 0
		.amdhsa_user_sgpr_kernarg_preload_length 0
		.amdhsa_user_sgpr_kernarg_preload_offset 0
		.amdhsa_user_sgpr_private_segment_size 0
		.amdhsa_uses_dynamic_stack 0
		.amdhsa_enable_private_segment 1
		.amdhsa_system_sgpr_workgroup_id_x 1
		.amdhsa_system_sgpr_workgroup_id_y 0
		.amdhsa_system_sgpr_workgroup_id_z 0
		.amdhsa_system_sgpr_workgroup_info 0
		.amdhsa_system_vgpr_workitem_id 0
		.amdhsa_next_free_vgpr 512
		.amdhsa_next_free_sgpr 62
		.amdhsa_accum_offset 256
		.amdhsa_reserve_vcc 1
		.amdhsa_float_round_mode_32 0
		.amdhsa_float_round_mode_16_64 0
		.amdhsa_float_denorm_mode_32 3
		.amdhsa_float_denorm_mode_16_64 3
		.amdhsa_dx10_clamp 1
		.amdhsa_ieee_mode 1
		.amdhsa_fp16_overflow 0
		.amdhsa_tg_split 0
		.amdhsa_exception_fp_ieee_invalid_op 0
		.amdhsa_exception_fp_denorm_src 0
		.amdhsa_exception_fp_ieee_div_zero 0
		.amdhsa_exception_fp_ieee_overflow 0
		.amdhsa_exception_fp_ieee_underflow 0
		.amdhsa_exception_fp_ieee_inexact 0
		.amdhsa_exception_int_div_zero 0
	.end_amdhsa_kernel
	.text
.Lfunc_end0:
	.size	bluestein_single_fwd_len2040_dim1_dp_op_CI_CI, .Lfunc_end0-bluestein_single_fwd_len2040_dim1_dp_op_CI_CI
                                        ; -- End function
	.section	.AMDGPU.csdata,"",@progbits
; Kernel info:
; codeLenInByte = 34156
; NumSgprs: 68
; NumVgprs: 256
; NumAgprs: 256
; TotalNumVgprs: 512
; ScratchSize: 72
; MemoryBound: 0
; FloatMode: 240
; IeeeMode: 1
; LDSByteSize: 32640 bytes/workgroup (compile time only)
; SGPRBlocks: 8
; VGPRBlocks: 63
; NumSGPRsForWavesPerEU: 68
; NumVGPRsForWavesPerEU: 512
; AccumOffset: 256
; Occupancy: 1
; WaveLimiterHint : 1
; COMPUTE_PGM_RSRC2:SCRATCH_EN: 1
; COMPUTE_PGM_RSRC2:USER_SGPR: 2
; COMPUTE_PGM_RSRC2:TRAP_HANDLER: 0
; COMPUTE_PGM_RSRC2:TGID_X_EN: 1
; COMPUTE_PGM_RSRC2:TGID_Y_EN: 0
; COMPUTE_PGM_RSRC2:TGID_Z_EN: 0
; COMPUTE_PGM_RSRC2:TIDIG_COMP_CNT: 0
; COMPUTE_PGM_RSRC3_GFX90A:ACCUM_OFFSET: 63
; COMPUTE_PGM_RSRC3_GFX90A:TG_SPLIT: 0
	.text
	.p2alignl 6, 3212836864
	.fill 256, 4, 3212836864
	.type	__hip_cuid_75f60c6c7544ce8c,@object ; @__hip_cuid_75f60c6c7544ce8c
	.section	.bss,"aw",@nobits
	.globl	__hip_cuid_75f60c6c7544ce8c
__hip_cuid_75f60c6c7544ce8c:
	.byte	0                               ; 0x0
	.size	__hip_cuid_75f60c6c7544ce8c, 1

	.ident	"AMD clang version 19.0.0git (https://github.com/RadeonOpenCompute/llvm-project roc-6.4.0 25133 c7fe45cf4b819c5991fe208aaa96edf142730f1d)"
	.section	".note.GNU-stack","",@progbits
	.addrsig
	.addrsig_sym __hip_cuid_75f60c6c7544ce8c
	.amdgpu_metadata
---
amdhsa.kernels:
  - .agpr_count:     256
    .args:
      - .actual_access:  read_only
        .address_space:  global
        .offset:         0
        .size:           8
        .value_kind:     global_buffer
      - .actual_access:  read_only
        .address_space:  global
        .offset:         8
        .size:           8
        .value_kind:     global_buffer
      - .actual_access:  read_only
        .address_space:  global
        .offset:         16
        .size:           8
        .value_kind:     global_buffer
      - .actual_access:  read_only
        .address_space:  global
        .offset:         24
        .size:           8
        .value_kind:     global_buffer
      - .actual_access:  read_only
        .address_space:  global
        .offset:         32
        .size:           8
        .value_kind:     global_buffer
      - .offset:         40
        .size:           8
        .value_kind:     by_value
      - .address_space:  global
        .offset:         48
        .size:           8
        .value_kind:     global_buffer
      - .address_space:  global
        .offset:         56
        .size:           8
        .value_kind:     global_buffer
      - .address_space:  global
        .offset:         64
        .size:           8
        .value_kind:     global_buffer
      - .address_space:  global
        .offset:         72
        .size:           8
        .value_kind:     global_buffer
      - .offset:         80
        .size:           4
        .value_kind:     by_value
      - .address_space:  global
        .offset:         88
        .size:           8
        .value_kind:     global_buffer
      - .address_space:  global
        .offset:         96
        .size:           8
        .value_kind:     global_buffer
    .group_segment_fixed_size: 32640
    .kernarg_segment_align: 8
    .kernarg_segment_size: 104
    .language:       OpenCL C
    .language_version:
      - 2
      - 0
    .max_flat_workgroup_size: 170
    .name:           bluestein_single_fwd_len2040_dim1_dp_op_CI_CI
    .private_segment_fixed_size: 72
    .sgpr_count:     68
    .sgpr_spill_count: 0
    .symbol:         bluestein_single_fwd_len2040_dim1_dp_op_CI_CI.kd
    .uniform_work_group_size: 1
    .uses_dynamic_stack: false
    .vgpr_count:     512
    .vgpr_spill_count: 17
    .wavefront_size: 64
amdhsa.target:   amdgcn-amd-amdhsa--gfx950
amdhsa.version:
  - 1
  - 2
...

	.end_amdgpu_metadata
